;; amdgpu-corpus repo=ROCm/rocFFT kind=compiled arch=gfx950 opt=O3
	.text
	.amdgcn_target "amdgcn-amd-amdhsa--gfx950"
	.amdhsa_code_object_version 6
	.protected	fft_rtc_fwd_len1092_factors_2_2_13_7_3_wgs_52_tpt_52_halfLds_dp_op_CI_CI_sbrr_dirReg ; -- Begin function fft_rtc_fwd_len1092_factors_2_2_13_7_3_wgs_52_tpt_52_halfLds_dp_op_CI_CI_sbrr_dirReg
	.globl	fft_rtc_fwd_len1092_factors_2_2_13_7_3_wgs_52_tpt_52_halfLds_dp_op_CI_CI_sbrr_dirReg
	.p2align	8
	.type	fft_rtc_fwd_len1092_factors_2_2_13_7_3_wgs_52_tpt_52_halfLds_dp_op_CI_CI_sbrr_dirReg,@function
fft_rtc_fwd_len1092_factors_2_2_13_7_3_wgs_52_tpt_52_halfLds_dp_op_CI_CI_sbrr_dirReg: ; @fft_rtc_fwd_len1092_factors_2_2_13_7_3_wgs_52_tpt_52_halfLds_dp_op_CI_CI_sbrr_dirReg
; %bb.0:
	s_load_dwordx4 s[12:15], s[0:1], 0x18
	s_load_dwordx4 s[8:11], s[0:1], 0x0
	;; [unrolled: 1-line block ×3, first 2 shown]
	v_mul_u32_u24_e32 v1, 0x4ed, v0
	v_add_u32_sdwa v6, s2, v1 dst_sel:DWORD dst_unused:UNUSED_PAD src0_sel:DWORD src1_sel:WORD_1
	s_waitcnt lgkmcnt(0)
	s_load_dwordx2 s[18:19], s[12:13], 0x0
	s_load_dwordx2 s[16:17], s[14:15], 0x0
	v_mov_b32_e32 v4, 0
	v_cmp_lt_u64_e64 s[2:3], s[10:11], 2
	v_mov_b32_e32 v7, v4
	s_and_b64 vcc, exec, s[2:3]
	v_mov_b64_e32 v[2:3], 0
	s_cbranch_vccnz .LBB0_8
; %bb.1:
	s_load_dwordx2 s[2:3], s[0:1], 0x10
	s_add_u32 s20, s14, 8
	s_addc_u32 s21, s15, 0
	s_add_u32 s22, s12, 8
	s_addc_u32 s23, s13, 0
	s_waitcnt lgkmcnt(0)
	s_add_u32 s24, s2, 8
	v_mov_b64_e32 v[2:3], 0
	s_addc_u32 s25, s3, 0
	s_mov_b64 s[26:27], 1
	v_mov_b64_e32 v[120:121], v[2:3]
.LBB0_2:                                ; =>This Inner Loop Header: Depth=1
	s_load_dwordx2 s[28:29], s[24:25], 0x0
                                        ; implicit-def: $vgpr122_vgpr123
	s_waitcnt lgkmcnt(0)
	v_or_b32_e32 v5, s29, v7
	v_cmp_ne_u64_e32 vcc, 0, v[4:5]
	s_and_saveexec_b64 s[2:3], vcc
	s_xor_b64 s[30:31], exec, s[2:3]
	s_cbranch_execz .LBB0_4
; %bb.3:                                ;   in Loop: Header=BB0_2 Depth=1
	v_cvt_f32_u32_e32 v1, s28
	v_cvt_f32_u32_e32 v5, s29
	s_sub_u32 s2, 0, s28
	s_subb_u32 s3, 0, s29
	v_fmac_f32_e32 v1, 0x4f800000, v5
	v_rcp_f32_e32 v1, v1
	s_nop 0
	v_mul_f32_e32 v1, 0x5f7ffffc, v1
	v_mul_f32_e32 v5, 0x2f800000, v1
	v_trunc_f32_e32 v5, v5
	v_fmac_f32_e32 v1, 0xcf800000, v5
	v_cvt_u32_f32_e32 v5, v5
	v_cvt_u32_f32_e32 v1, v1
	v_mul_lo_u32 v8, s2, v5
	v_mul_hi_u32 v10, s2, v1
	v_mul_lo_u32 v9, s3, v1
	v_add_u32_e32 v10, v10, v8
	v_mul_lo_u32 v12, s2, v1
	v_add_u32_e32 v13, v10, v9
	v_mul_hi_u32 v8, v1, v12
	v_mul_hi_u32 v11, v1, v13
	v_mul_lo_u32 v10, v1, v13
	v_mov_b32_e32 v9, v4
	v_lshl_add_u64 v[8:9], v[8:9], 0, v[10:11]
	v_mul_hi_u32 v11, v5, v12
	v_mul_lo_u32 v12, v5, v12
	v_add_co_u32_e32 v8, vcc, v8, v12
	v_mul_hi_u32 v10, v5, v13
	s_nop 0
	v_addc_co_u32_e32 v8, vcc, v9, v11, vcc
	v_mov_b32_e32 v9, v4
	s_nop 0
	v_addc_co_u32_e32 v11, vcc, 0, v10, vcc
	v_mul_lo_u32 v10, v5, v13
	v_lshl_add_u64 v[8:9], v[8:9], 0, v[10:11]
	v_add_co_u32_e32 v1, vcc, v1, v8
	v_mul_lo_u32 v10, s2, v1
	s_nop 0
	v_addc_co_u32_e32 v5, vcc, v5, v9, vcc
	v_mul_lo_u32 v8, s2, v5
	v_mul_hi_u32 v9, s2, v1
	v_add_u32_e32 v8, v9, v8
	v_mul_lo_u32 v9, s3, v1
	v_add_u32_e32 v12, v8, v9
	v_mul_hi_u32 v14, v5, v10
	v_mul_lo_u32 v15, v5, v10
	v_mul_hi_u32 v9, v1, v12
	v_mul_lo_u32 v8, v1, v12
	v_mul_hi_u32 v10, v1, v10
	v_mov_b32_e32 v11, v4
	v_lshl_add_u64 v[8:9], v[10:11], 0, v[8:9]
	v_add_co_u32_e32 v8, vcc, v8, v15
	v_mul_hi_u32 v13, v5, v12
	s_nop 0
	v_addc_co_u32_e32 v8, vcc, v9, v14, vcc
	v_mul_lo_u32 v10, v5, v12
	s_nop 0
	v_addc_co_u32_e32 v11, vcc, 0, v13, vcc
	v_mov_b32_e32 v9, v4
	v_lshl_add_u64 v[8:9], v[8:9], 0, v[10:11]
	v_add_co_u32_e32 v1, vcc, v1, v8
	v_mul_hi_u32 v10, v6, v1
	s_nop 0
	v_addc_co_u32_e32 v5, vcc, v5, v9, vcc
	v_mad_u64_u32 v[8:9], s[2:3], v6, v5, 0
	v_mov_b32_e32 v11, v4
	v_lshl_add_u64 v[8:9], v[10:11], 0, v[8:9]
	v_mad_u64_u32 v[12:13], s[2:3], v7, v1, 0
	v_add_co_u32_e32 v1, vcc, v8, v12
	v_mad_u64_u32 v[10:11], s[2:3], v7, v5, 0
	s_nop 0
	v_addc_co_u32_e32 v8, vcc, v9, v13, vcc
	v_mov_b32_e32 v9, v4
	s_nop 0
	v_addc_co_u32_e32 v11, vcc, 0, v11, vcc
	v_lshl_add_u64 v[8:9], v[8:9], 0, v[10:11]
	v_mul_lo_u32 v1, s29, v8
	v_mul_lo_u32 v5, s28, v9
	v_mad_u64_u32 v[10:11], s[2:3], s28, v8, 0
	v_add3_u32 v1, v11, v5, v1
	v_sub_u32_e32 v5, v7, v1
	v_mov_b32_e32 v11, s29
	v_sub_co_u32_e32 v14, vcc, v6, v10
	v_lshl_add_u64 v[12:13], v[8:9], 0, 1
	s_nop 0
	v_subb_co_u32_e64 v5, s[2:3], v5, v11, vcc
	v_subrev_co_u32_e64 v10, s[2:3], s28, v14
	v_subb_co_u32_e32 v1, vcc, v7, v1, vcc
	s_nop 0
	v_subbrev_co_u32_e64 v5, s[2:3], 0, v5, s[2:3]
	v_cmp_le_u32_e64 s[2:3], s29, v5
	v_cmp_le_u32_e32 vcc, s29, v1
	s_nop 0
	v_cndmask_b32_e64 v11, 0, -1, s[2:3]
	v_cmp_le_u32_e64 s[2:3], s28, v10
	s_nop 1
	v_cndmask_b32_e64 v10, 0, -1, s[2:3]
	v_cmp_eq_u32_e64 s[2:3], s29, v5
	s_nop 1
	v_cndmask_b32_e64 v5, v11, v10, s[2:3]
	v_lshl_add_u64 v[10:11], v[8:9], 0, 2
	v_cmp_ne_u32_e64 s[2:3], 0, v5
	s_nop 1
	v_cndmask_b32_e64 v5, v13, v11, s[2:3]
	v_cndmask_b32_e64 v11, 0, -1, vcc
	v_cmp_le_u32_e32 vcc, s28, v14
	s_nop 1
	v_cndmask_b32_e64 v13, 0, -1, vcc
	v_cmp_eq_u32_e32 vcc, s29, v1
	s_nop 1
	v_cndmask_b32_e32 v1, v11, v13, vcc
	v_cmp_ne_u32_e32 vcc, 0, v1
	v_cndmask_b32_e64 v1, v12, v10, s[2:3]
	s_nop 0
	v_cndmask_b32_e32 v123, v9, v5, vcc
	v_cndmask_b32_e32 v122, v8, v1, vcc
.LBB0_4:                                ;   in Loop: Header=BB0_2 Depth=1
	s_andn2_saveexec_b64 s[2:3], s[30:31]
	s_cbranch_execz .LBB0_6
; %bb.5:                                ;   in Loop: Header=BB0_2 Depth=1
	v_cvt_f32_u32_e32 v1, s28
	s_sub_i32 s30, 0, s28
	v_mov_b32_e32 v123, v4
	v_rcp_iflag_f32_e32 v1, v1
	s_nop 0
	v_mul_f32_e32 v1, 0x4f7ffffe, v1
	v_cvt_u32_f32_e32 v1, v1
	v_mul_lo_u32 v5, s30, v1
	v_mul_hi_u32 v5, v1, v5
	v_add_u32_e32 v1, v1, v5
	v_mul_hi_u32 v1, v6, v1
	v_mul_lo_u32 v5, v1, s28
	v_sub_u32_e32 v5, v6, v5
	v_add_u32_e32 v8, 1, v1
	v_subrev_u32_e32 v9, s28, v5
	v_cmp_le_u32_e32 vcc, s28, v5
	s_nop 1
	v_cndmask_b32_e32 v5, v5, v9, vcc
	v_cndmask_b32_e32 v1, v1, v8, vcc
	v_add_u32_e32 v8, 1, v1
	v_cmp_le_u32_e32 vcc, s28, v5
	s_nop 1
	v_cndmask_b32_e32 v122, v1, v8, vcc
.LBB0_6:                                ;   in Loop: Header=BB0_2 Depth=1
	s_or_b64 exec, exec, s[2:3]
	v_mad_u64_u32 v[8:9], s[2:3], v122, s28, 0
	s_load_dwordx2 s[2:3], s[22:23], 0x0
	v_mul_lo_u32 v1, v123, s28
	v_mul_lo_u32 v5, v122, s29
	s_load_dwordx2 s[28:29], s[20:21], 0x0
	s_add_u32 s26, s26, 1
	v_add3_u32 v1, v9, v5, v1
	v_sub_co_u32_e32 v5, vcc, v6, v8
	s_addc_u32 s27, s27, 0
	s_nop 0
	v_subb_co_u32_e32 v1, vcc, v7, v1, vcc
	s_add_u32 s20, s20, 8
	s_waitcnt lgkmcnt(0)
	v_mul_lo_u32 v6, s2, v1
	v_mul_lo_u32 v7, s3, v5
	v_mad_u64_u32 v[2:3], s[2:3], s2, v5, v[2:3]
	s_addc_u32 s21, s21, 0
	v_add3_u32 v3, v7, v3, v6
	v_mul_lo_u32 v1, s28, v1
	v_mul_lo_u32 v6, s29, v5
	v_mad_u64_u32 v[120:121], s[2:3], s28, v5, v[120:121]
	s_add_u32 s22, s22, 8
	v_add3_u32 v121, v6, v121, v1
	s_addc_u32 s23, s23, 0
	v_mov_b64_e32 v[6:7], s[10:11]
	s_add_u32 s24, s24, 8
	v_cmp_ge_u64_e32 vcc, s[26:27], v[6:7]
	s_addc_u32 s25, s25, 0
	s_cbranch_vccnz .LBB0_9
; %bb.7:                                ;   in Loop: Header=BB0_2 Depth=1
	v_mov_b64_e32 v[6:7], v[122:123]
	s_branch .LBB0_2
.LBB0_8:
	v_mov_b64_e32 v[120:121], v[2:3]
	v_mov_b64_e32 v[122:123], v[6:7]
.LBB0_9:
	s_load_dwordx2 s[0:1], s[0:1], 0x28
	s_lshl_b64 s[20:21], s[10:11], 3
	s_add_u32 s10, s14, s20
	s_addc_u32 s11, s15, s21
                                        ; implicit-def: $vgpr178
                                        ; implicit-def: $vgpr135
                                        ; implicit-def: $vgpr131
                                        ; implicit-def: $vgpr104
                                        ; implicit-def: $vgpr105
                                        ; implicit-def: $vgpr107
                                        ; implicit-def: $vgpr106
                                        ; implicit-def: $vgpr140
                                        ; implicit-def: $vgpr141
                                        ; implicit-def: $vgpr144
	s_waitcnt lgkmcnt(0)
	v_cmp_gt_u64_e32 vcc, s[0:1], v[122:123]
	v_cmp_le_u64_e64 s[0:1], s[0:1], v[122:123]
	s_and_saveexec_b64 s[2:3], s[0:1]
	s_xor_b64 s[0:1], exec, s[2:3]
	s_cbranch_execz .LBB0_11
; %bb.10:
	s_mov_b32 s2, 0x4ec4ec5
	v_mul_hi_u32 v1, v0, s2
	v_mul_u32_u24_e32 v1, 52, v1
	v_sub_u32_e32 v178, v0, v1
	v_add_u32_e32 v135, 52, v178
	v_add_u32_e32 v131, 0x68, v178
	;; [unrolled: 1-line block ×9, first 2 shown]
                                        ; implicit-def: $vgpr0
                                        ; implicit-def: $vgpr2_vgpr3
.LBB0_11:
	s_or_saveexec_b64 s[2:3], s[0:1]
	s_load_dwordx2 s[10:11], s[10:11], 0x0
                                        ; implicit-def: $vgpr82_vgpr83
                                        ; implicit-def: $vgpr68_vgpr69
                                        ; implicit-def: $vgpr24_vgpr25
                                        ; implicit-def: $vgpr16_vgpr17
                                        ; implicit-def: $vgpr36_vgpr37
                                        ; implicit-def: $vgpr4_vgpr5
                                        ; implicit-def: $vgpr12_vgpr13
                                        ; implicit-def: $vgpr8_vgpr9
                                        ; implicit-def: $vgpr28_vgpr29
                                        ; implicit-def: $vgpr20_vgpr21
                                        ; implicit-def: $vgpr44_vgpr45
                                        ; implicit-def: $vgpr32_vgpr33
                                        ; implicit-def: $vgpr56_vgpr57
                                        ; implicit-def: $vgpr52_vgpr53
                                        ; implicit-def: $vgpr64_vgpr65
                                        ; implicit-def: $vgpr60_vgpr61
                                        ; implicit-def: $vgpr86_vgpr87
                                        ; implicit-def: $vgpr78_vgpr79
                                        ; implicit-def: $vgpr98_vgpr99
                                        ; implicit-def: $vgpr92_vgpr93
                                        ; implicit-def: $vgpr48_vgpr49
                                        ; implicit-def: $vgpr40_vgpr41
	s_xor_b64 exec, exec, s[2:3]
	s_cbranch_execz .LBB0_15
; %bb.12:
	s_add_u32 s0, s12, s20
	s_addc_u32 s1, s13, s21
	s_load_dwordx2 s[0:1], s[0:1], 0x0
	s_mov_b32 s12, 0x4ec4ec5
	s_waitcnt lgkmcnt(0)
	v_mul_lo_u32 v1, s1, v122
	v_mul_lo_u32 v6, s0, v123
	v_mad_u64_u32 v[4:5], s[0:1], s0, v122, 0
	v_add3_u32 v5, v5, v6, v1
	v_mul_hi_u32 v1, v0, s12
	v_mul_u32_u24_e32 v1, 52, v1
	v_sub_u32_e32 v178, v0, v1
	v_mad_u64_u32 v[6:7], s[0:1], s18, v178, 0
	v_mov_b32_e32 v0, v7
	v_mad_u64_u32 v[0:1], s[0:1], s19, v178, v[0:1]
	v_mov_b32_e32 v7, v0
	v_lshl_add_u64 v[0:1], v[4:5], 4, s[4:5]
	v_lshl_add_u64 v[0:1], v[2:3], 4, v[0:1]
	;; [unrolled: 1-line block ×3, first 2 shown]
	v_add_u32_e32 v7, 0x222, v178
	v_mad_u64_u32 v[4:5], s[0:1], s18, v7, 0
	v_mov_b32_e32 v6, v5
	v_mad_u64_u32 v[6:7], s[0:1], s19, v7, v[6:7]
	v_add_u32_e32 v135, 52, v178
	v_mov_b32_e32 v5, v6
	v_mad_u64_u32 v[6:7], s[0:1], s18, v135, 0
	v_mov_b32_e32 v8, v7
	v_mad_u64_u32 v[8:9], s[0:1], s19, v135, v[8:9]
	v_add_u32_e32 v11, 0x256, v178
	v_mov_b32_e32 v7, v8
	;; [unrolled: 5-line block ×16, first 2 shown]
	v_mad_u64_u32 v[36:37], s[0:1], s18, v39, 0
	v_mov_b32_e32 v38, v37
	v_add_u32_e32 v144, 0x1d4, v178
	v_mad_u64_u32 v[38:39], s[0:1], s19, v39, v[38:39]
	v_mad_u64_u32 v[42:43], s[0:1], s18, v144, 0
	v_mov_b32_e32 v37, v38
	v_mov_b32_e32 v38, v43
	v_mad_u64_u32 v[38:39], s[0:1], s19, v144, v[38:39]
	v_add_u32_e32 v39, 0x3f6, v178
	v_mad_u64_u32 v[44:45], s[0:1], s18, v39, 0
	v_mov_b32_e32 v43, v38
	v_mov_b32_e32 v38, v45
	v_mad_u64_u32 v[50:51], s[0:1], s19, v39, v[38:39]
	v_lshl_add_u64 v[4:5], v[4:5], 4, v[0:1]
	v_lshl_add_u64 v[66:67], v[6:7], 4, v[0:1]
	;; [unrolled: 1-line block ×7, first 2 shown]
	v_mov_b32_e32 v45, v50
	global_load_dwordx4 v[38:41], v[2:3], off
	global_load_dwordx4 v[46:49], v[4:5], off
	v_lshl_add_u64 v[68:69], v[8:9], 4, v[0:1]
	v_lshl_add_u64 v[70:71], v[10:11], 4, v[0:1]
	;; [unrolled: 1-line block ×12, first 2 shown]
	global_load_dwordx4 v[90:93], v[66:67], off
	global_load_dwordx4 v[96:99], v[68:69], off
	;; [unrolled: 1-line block ×15, first 2 shown]
                                        ; kill: killed $vgpr100_vgpr101
                                        ; kill: killed $vgpr88_vgpr89
                                        ; kill: killed $vgpr24_vgpr25
                                        ; kill: killed $vgpr80_vgpr81
                                        ; kill: killed $vgpr16_vgpr17
                                        ; kill: killed $vgpr72_vgpr73
                                        ; kill: killed $vgpr68_vgpr69
                                        ; kill: killed $vgpr34_vgpr35
                                        ; kill: killed $vgpr94_vgpr95
                                        ; kill: killed $vgpr82_vgpr83
                                        ; kill: killed $vgpr22_vgpr23
                                        ; kill: killed $vgpr74_vgpr75
                                        ; kill: killed $vgpr14_vgpr15
                                        ; kill: killed $vgpr70_vgpr71
                                        ; kill: killed $vgpr66_vgpr67
	s_nop 0
	global_load_dwordx4 v[34:37], v[102:103], off
	global_load_dwordx4 v[14:17], v[108:109], off
	;; [unrolled: 1-line block ×3, first 2 shown]
	v_cmp_gt_u32_e64 s[0:1], 26, v178
                                        ; implicit-def: $vgpr66_vgpr67
                                        ; implicit-def: $vgpr80_vgpr81
	s_and_saveexec_b64 s[4:5], s[0:1]
	s_cbranch_execz .LBB0_14
; %bb.13:
	v_add_u32_e32 v69, 0x208, v178
	v_mad_u64_u32 v[66:67], s[0:1], s18, v69, 0
	v_mov_b32_e32 v68, v67
	v_mad_u64_u32 v[68:69], s[0:1], s19, v69, v[68:69]
	v_mov_b32_e32 v67, v68
	v_add_u32_e32 v69, 0x42a, v178
	v_lshl_add_u64 v[70:71], v[66:67], 4, v[0:1]
	v_mad_u64_u32 v[66:67], s[0:1], s18, v69, 0
	v_mov_b32_e32 v68, v67
	v_mad_u64_u32 v[68:69], s[0:1], s19, v69, v[68:69]
	v_mov_b32_e32 v67, v68
	v_lshl_add_u64 v[0:1], v[66:67], 4, v[0:1]
	global_load_dwordx4 v[66:69], v[70:71], off
	global_load_dwordx4 v[80:83], v[0:1], off
.LBB0_14:
	s_or_b64 exec, exec, s[4:5]
.LBB0_15:
	s_or_b64 exec, exec, s[2:3]
	s_waitcnt vmcnt(16)
	v_add_f64 v[96:97], v[90:91], -v[96:97]
	v_fma_f64 v[94:95], v[90:91], 2.0, -v[96:97]
	s_waitcnt vmcnt(14)
	v_add_f64 v[90:91], v[76:77], -v[84:85]
	v_add_f64 v[72:73], v[38:39], -v[46:47]
	v_fma_f64 v[88:89], v[76:77], 2.0, -v[90:91]
	s_waitcnt vmcnt(12)
	v_add_f64 v[76:77], v[58:59], -v[62:63]
	v_fma_f64 v[70:71], v[38:39], 2.0, -v[72:73]
	v_fma_f64 v[74:75], v[58:59], 2.0, -v[76:77]
	v_lshl_add_u32 v58, v178, 4, 0
	ds_write_b128 v58, v[70:73]
	s_waitcnt vmcnt(6)
	v_add_f64 v[72:73], v[18:19], -v[26:27]
	v_fma_f64 v[70:71], v[18:19], 2.0, -v[72:73]
	v_lshl_add_u32 v59, v135, 4, 0
	v_lshl_add_u32 v18, v131, 4, 0
	ds_write_b128 v59, v[94:97]
	ds_write_b128 v18, v[88:91]
	s_waitcnt vmcnt(4)
	v_add_f64 v[90:91], v[6:7], -v[10:11]
	v_lshl_add_u32 v10, v104, 4, 0
	ds_write_b128 v10, v[74:77]
	s_waitcnt vmcnt(2)
	v_add_f64 v[76:77], v[2:3], -v[34:35]
	v_add_f64 v[102:103], v[50:51], -v[54:55]
	;; [unrolled: 1-line block ×3, first 2 shown]
	v_fma_f64 v[74:75], v[2:3], 2.0, -v[76:77]
	s_waitcnt vmcnt(0)
	v_add_f64 v[96:97], v[14:15], -v[22:23]
	v_add_f64 v[2:3], v[66:67], -v[80:81]
	v_add_u32_e32 v145, 0x208, v178
	v_fma_f64 v[100:101], v[50:51], 2.0, -v[102:103]
	v_fma_f64 v[108:109], v[30:31], 2.0, -v[110:111]
	;; [unrolled: 1-line block ×3, first 2 shown]
	v_lshl_add_u32 v11, v105, 4, 0
	v_fma_f64 v[94:95], v[14:15], 2.0, -v[96:97]
	v_lshl_add_u32 v14, v107, 4, 0
	v_lshl_add_u32 v15, v106, 4, 0
	v_fma_f64 v[0:1], v[66:67], 2.0, -v[2:3]
	v_lshl_add_u32 v19, v140, 4, 0
	v_lshl_add_u32 v22, v141, 4, 0
	;; [unrolled: 1-line block ×3, first 2 shown]
	v_cmp_gt_u32_e64 s[2:3], 26, v178
	v_lshl_add_u32 v62, v145, 4, 0
	ds_write_b128 v11, v[100:103]
	ds_write_b128 v14, v[108:111]
	ds_write_b128 v15, v[70:73]
	ds_write_b128 v19, v[88:91]
	ds_write_b128 v22, v[74:77]
	ds_write_b128 v23, v[94:97]
	s_and_saveexec_b64 s[0:1], s[2:3]
	s_cbranch_execz .LBB0_17
; %bb.16:
	ds_write_b128 v62, v[0:3]
.LBB0_17:
	s_or_b64 exec, exec, s[0:1]
	v_lshl_add_u32 v179, v178, 3, 0
	v_lshlrev_b32_e32 v54, 3, v131
	v_lshlrev_b32_e32 v55, 3, v104
	;; [unrolled: 1-line block ×6, first 2 shown]
	v_add_u32_e32 v6, 0x1000, v179
	v_sub_u32_e32 v30, v18, v54
	v_sub_u32_e32 v34, v10, v55
	;; [unrolled: 1-line block ×3, first 2 shown]
	v_add_u32_e32 v39, 0x1400, v179
	v_sub_u32_e32 v42, v14, v80
	v_sub_u32_e32 v46, v15, v84
	v_add_u32_e32 v66, 0x1800, v179
	v_sub_u32_e32 v50, v19, v85
	s_waitcnt lgkmcnt(0)
	; wave barrier
	s_waitcnt lgkmcnt(0)
	ds_read2_b64 v[70:73], v6 offset0:34 offset1:86
	v_lshl_add_u32 v125, v135, 3, 0
	ds_read2_b64 v[74:77], v6 offset0:138 offset1:190
	ds_read_b64 v[6:7], v179
	ds_read_b64 v[26:27], v125
	;; [unrolled: 1-line block ×4, first 2 shown]
	ds_read2_b64 v[88:91], v39 offset0:114 offset1:166
	ds_read2_b64 v[94:97], v66 offset0:90 offset1:142
	ds_read_b64 v[38:39], v38
	ds_read_b64 v[42:43], v42
	;; [unrolled: 1-line block ×4, first 2 shown]
	v_lshlrev_b32_e32 v113, 3, v141
	v_sub_u32_e32 v67, v22, v113
	v_lshlrev_b32_e32 v114, 3, v144
	ds_read2_b64 v[100:103], v66 offset0:194 offset1:246
	v_sub_u32_e32 v66, v23, v114
	ds_read_b64 v[108:109], v67
	ds_read_b64 v[110:111], v66
	s_and_saveexec_b64 s[0:1], s[2:3]
	s_cbranch_execz .LBB0_19
; %bb.18:
	ds_read_b64 v[0:1], v179 offset:4160
	ds_read_b64 v[2:3], v179 offset:8528
.LBB0_19:
	s_or_b64 exec, exec, s[0:1]
	v_sub_u32_e32 v112, 0, v54
	v_sub_u32_e32 v67, 0, v55
	v_add_f64 v[116:117], v[40:41], -v[48:49]
	v_add_f64 v[152:153], v[52:53], -v[56:57]
	v_add_f64 v[54:55], v[68:69], -v[82:83]
	v_sub_u32_e32 v66, 0, v63
	v_sub_u32_e32 v81, 0, v80
	;; [unrolled: 1-line block ×6, first 2 shown]
	v_fma_f64 v[114:115], v[40:41], 2.0, -v[116:117]
	v_add_f64 v[128:129], v[92:93], -v[98:99]
	v_add_f64 v[138:139], v[78:79], -v[86:87]
	;; [unrolled: 1-line block ×3, first 2 shown]
	v_fma_f64 v[150:151], v[52:53], 2.0, -v[152:153]
	v_add_f64 v[156:157], v[32:33], -v[44:45]
	v_add_f64 v[160:161], v[20:21], -v[28:29]
	;; [unrolled: 1-line block ×5, first 2 shown]
	v_fma_f64 v[52:53], v[68:69], 2.0, -v[54:55]
	v_fma_f64 v[126:127], v[92:93], 2.0, -v[128:129]
	;; [unrolled: 1-line block ×9, first 2 shown]
	s_waitcnt lgkmcnt(0)
	; wave barrier
	s_waitcnt lgkmcnt(0)
	ds_write_b128 v58, v[114:117]
	ds_write_b128 v59, v[126:129]
	;; [unrolled: 1-line block ×10, first 2 shown]
	s_and_saveexec_b64 s[0:1], s[2:3]
	s_cbranch_execz .LBB0_21
; %bb.20:
	ds_write_b128 v62, v[52:55]
.LBB0_21:
	s_or_b64 exec, exec, s[0:1]
	v_add_u32_e32 v4, 0x1000, v179
	s_waitcnt lgkmcnt(0)
	; wave barrier
	s_waitcnt lgkmcnt(0)
	ds_read2_b64 v[60:63], v4 offset0:34 offset1:86
	ds_read2_b64 v[56:59], v4 offset0:138 offset1:190
	v_add_u32_e32 v4, 0x1400, v179
	v_add_u32_e32 v133, v18, v112
	;; [unrolled: 1-line block ×3, first 2 shown]
	ds_read_b64 v[98:99], v179
	ds_read_b64 v[92:93], v125
	;; [unrolled: 1-line block ×4, first 2 shown]
	v_add_u32_e32 v127, v11, v66
	ds_read2_b64 v[64:67], v4 offset0:114 offset1:166
	v_add_u32_e32 v4, 0x1800, v179
	v_add_u32_e32 v129, v14, v81
	;; [unrolled: 1-line block ×3, first 2 shown]
	ds_read2_b64 v[78:81], v4 offset0:90 offset1:142
	v_add_u32_e32 v180, v19, v85
	ds_read_b64 v[138:139], v127
	ds_read_b64 v[116:117], v129
	;; [unrolled: 1-line block ×4, first 2 shown]
	v_add_u32_e32 v5, v22, v84
	ds_read2_b64 v[82:85], v4 offset0:194 offset1:246
	v_add_u32_e32 v137, v23, v118
	ds_read_b64 v[142:143], v5
	ds_read_b64 v[118:119], v137
	v_lshlrev_b32_e32 v124, 1, v178
	v_lshlrev_b32_e32 v126, 1, v135
	;; [unrolled: 1-line block ×10, first 2 shown]
	s_and_saveexec_b64 s[0:1], s[2:3]
	s_cbranch_execz .LBB0_23
; %bb.22:
	ds_read_b64 v[52:53], v179 offset:4160
	ds_read_b64 v[54:55], v179 offset:8528
.LBB0_23:
	s_or_b64 exec, exec, s[0:1]
	v_and_b32_e32 v144, 1, v178
	v_lshlrev_b32_e32 v9, 4, v144
	global_load_dwordx4 v[104:107], v9, s[8:9]
	s_movk_i32 s1, 0xfc
	s_movk_i32 s4, 0x1fc
	s_movk_i32 s5, 0x3fc
	s_movk_i32 s12, 0x2fc
	s_movk_i32 s0, 0x7c
	s_movk_i32 s13, 0x7fc
	v_and_or_b32 v10, v126, s1, v144
	v_and_or_b32 v11, v128, s4, v144
	;; [unrolled: 1-line block ×10, first 2 shown]
	v_lshl_add_u32 v147, v10, 3, 0
	v_lshl_add_u32 v148, v11, 3, 0
	;; [unrolled: 1-line block ×10, first 2 shown]
	s_waitcnt lgkmcnt(0)
	; wave barrier
	s_waitcnt vmcnt(0) lgkmcnt(0)
	v_mul_f64 v[4:5], v[60:61], v[106:107]
	v_mul_f64 v[10:11], v[56:57], v[106:107]
	;; [unrolled: 1-line block ×11, first 2 shown]
	v_fma_f64 v[4:5], v[70:71], v[104:105], -v[4:5]
	v_fma_f64 v[10:11], v[74:75], v[104:105], -v[10:11]
	;; [unrolled: 1-line block ×11, first 2 shown]
	v_add_f64 v[4:5], v[6:7], -v[4:5]
	v_add_f64 v[40:41], v[30:31], -v[10:11]
	v_add_f64 v[48:49], v[38:39], -v[14:15]
	v_add_f64 v[140:141], v[46:47], -v[18:19]
	v_add_f64 v[22:23], v[50:51], -v[20:21]
	v_add_f64 v[14:15], v[108:109], -v[32:33]
	v_add_f64 v[18:19], v[110:111], -v[24:25]
	v_add_f64 v[10:11], v[0:1], -v[28:29]
	v_add_f64 v[36:37], v[26:27], -v[8:9]
	v_add_f64 v[44:45], v[34:35], -v[12:13]
	v_add_f64 v[156:157], v[42:43], -v[16:17]
	v_fma_f64 v[20:21], v[50:51], 2.0, -v[22:23]
	v_fma_f64 v[12:13], v[108:109], 2.0, -v[14:15]
	;; [unrolled: 1-line block ×5, first 2 shown]
	v_lshlrev_b32_e32 v0, 1, v145
	v_fma_f64 v[24:25], v[26:27], 2.0, -v[36:37]
	v_fma_f64 v[26:27], v[30:31], 2.0, -v[40:41]
	;; [unrolled: 1-line block ×6, first 2 shown]
	ds_write2_b64 v146, v[6:7], v[4:5] offset1:2
	ds_write2_b64 v147, v[24:25], v[36:37] offset1:2
	;; [unrolled: 1-line block ×10, first 2 shown]
	s_and_saveexec_b64 s[0:1], s[2:3]
	s_cbranch_execz .LBB0_25
; %bb.24:
	s_movk_i32 s4, 0x47c
	v_and_or_b32 v1, v0, s4, v144
	v_lshl_add_u32 v1, v1, 3, 0
	ds_write2_b64 v1, v[8:9], v[10:11] offset1:2
.LBB0_25:
	s_or_b64 exec, exec, s[0:1]
	v_add_u32_e32 v28, 0x800, v179
	v_add_u32_e32 v25, 0xc00, v179
	;; [unrolled: 1-line block ×4, first 2 shown]
	s_waitcnt lgkmcnt(0)
	; wave barrier
	s_waitcnt lgkmcnt(0)
	ds_read2_b64 v[4:7], v179 offset1:84
	ds_read2_b64 v[48:51], v179 offset0:168 offset1:252
	ds_read2_b64 v[44:47], v28 offset0:80 offset1:164
	ds_read2_b64 v[40:43], v25 offset0:120 offset1:204
	ds_read2_b64 v[36:39], v24 offset0:160 offset1:244
	ds_read2_b64 v[32:35], v1 offset0:72 offset1:156
	ds_read_b64 v[174:175], v179 offset:8064
	v_cmp_gt_u32_e64 s[0:1], 32, v178
                                        ; implicit-def: $vgpr26_vgpr27
                                        ; implicit-def: $vgpr30_vgpr31
	s_and_saveexec_b64 s[4:5], s[0:1]
	s_cbranch_execz .LBB0_27
; %bb.26:
	ds_read_b64 v[140:141], v125
	ds_read2_b64 v[20:23], v179 offset0:136 offset1:220
	ds_read2_b64 v[12:15], v28 offset0:48 offset1:132
	;; [unrolled: 1-line block ×5, first 2 shown]
	v_add_u32_e32 v1, 0x1c00, v179
	ds_read2_b64 v[24:27], v1 offset0:80 offset1:164
.LBB0_27:
	s_or_b64 exec, exec, s[4:5]
	v_mul_f64 v[70:71], v[70:71], v[106:107]
	v_fmac_f64_e32 v[70:71], v[60:61], v[104:105]
	v_mul_f64 v[60:61], v[72:73], v[106:107]
	v_fmac_f64_e32 v[60:61], v[62:63], v[104:105]
	v_mul_f64 v[62:63], v[74:75], v[106:107]
	v_fmac_f64_e32 v[62:63], v[56:57], v[104:105]
	v_mul_f64 v[56:57], v[76:77], v[106:107]
	v_fmac_f64_e32 v[56:57], v[58:59], v[104:105]
	v_mul_f64 v[58:59], v[88:89], v[106:107]
	v_fmac_f64_e32 v[58:59], v[64:65], v[104:105]
	v_mul_f64 v[64:65], v[90:91], v[106:107]
	v_fmac_f64_e32 v[64:65], v[66:67], v[104:105]
	v_mul_f64 v[66:67], v[94:95], v[106:107]
	v_mul_f64 v[72:73], v[96:97], v[106:107]
	;; [unrolled: 1-line block ×5, first 2 shown]
	v_fmac_f64_e32 v[66:67], v[78:79], v[104:105]
	v_fmac_f64_e32 v[72:73], v[80:81], v[104:105]
	;; [unrolled: 1-line block ×5, first 2 shown]
	v_add_f64 v[80:81], v[92:93], -v[60:61]
	v_add_f64 v[90:91], v[138:139], -v[58:59]
	;; [unrolled: 1-line block ×3, first 2 shown]
	v_fma_f64 v[82:83], v[92:93], 2.0, -v[80:81]
	v_add_f64 v[84:85], v[86:87], -v[62:63]
	v_fma_f64 v[92:93], v[138:139], 2.0, -v[90:91]
	v_add_f64 v[138:139], v[114:115], -v[66:67]
	v_add_f64 v[66:67], v[112:113], -v[72:73]
	v_add_f64 v[62:63], v[142:143], -v[74:75]
	v_add_f64 v[58:59], v[118:119], -v[76:77]
	v_add_f64 v[54:55], v[52:53], -v[2:3]
	v_fma_f64 v[78:79], v[98:99], 2.0, -v[70:71]
	v_add_f64 v[88:89], v[68:69], -v[56:57]
	v_add_f64 v[94:95], v[116:117], -v[64:65]
	v_fma_f64 v[64:65], v[112:113], 2.0, -v[66:67]
	v_fma_f64 v[60:61], v[142:143], 2.0, -v[62:63]
	;; [unrolled: 1-line block ×8, first 2 shown]
	s_waitcnt lgkmcnt(0)
	; wave barrier
	s_waitcnt lgkmcnt(0)
	ds_write2_b64 v146, v[78:79], v[70:71] offset1:2
	ds_write2_b64 v147, v[82:83], v[80:81] offset1:2
	;; [unrolled: 1-line block ×10, first 2 shown]
	s_and_saveexec_b64 s[4:5], s[2:3]
	s_cbranch_execz .LBB0_29
; %bb.28:
	s_movk_i32 s2, 0x47c
	v_and_or_b32 v0, v0, s2, v144
	v_lshl_add_u32 v0, v0, 3, 0
	ds_write2_b64 v0, v[52:53], v[54:55] offset1:2
.LBB0_29:
	s_or_b64 exec, exec, s[4:5]
	v_add_u32_e32 v73, 0x800, v179
	v_add_u32_e32 v72, 0xc00, v179
	;; [unrolled: 1-line block ×4, first 2 shown]
	s_waitcnt lgkmcnt(0)
	; wave barrier
	s_waitcnt lgkmcnt(0)
	ds_read2_b64 v[0:3], v179 offset1:84
	ds_read2_b64 v[92:95], v179 offset0:168 offset1:252
	ds_read2_b64 v[88:91], v73 offset0:80 offset1:164
	;; [unrolled: 1-line block ×5, first 2 shown]
	ds_read_b64 v[176:177], v179 offset:8064
                                        ; implicit-def: $vgpr70_vgpr71
                                        ; implicit-def: $vgpr74_vgpr75
	s_and_saveexec_b64 s[2:3], s[0:1]
	s_cbranch_execz .LBB0_31
; %bb.30:
	ds_read_b64 v[138:139], v125
	ds_read2_b64 v[64:67], v179 offset0:136 offset1:220
	ds_read2_b64 v[60:63], v73 offset0:48 offset1:132
	;; [unrolled: 1-line block ×5, first 2 shown]
	v_add_u32_e32 v68, 0x1c00, v179
	ds_read2_b64 v[68:71], v68 offset0:80 offset1:164
.LBB0_31:
	s_or_b64 exec, exec, s[2:3]
	v_and_b32_e32 v183, 3, v178
	v_mul_u32_u24_e32 v96, 12, v183
	v_lshlrev_b32_e32 v142, 4, v96
	global_load_dwordx4 v[108:111], v142, s[8:9] offset:32
	global_load_dwordx4 v[104:107], v142, s[8:9] offset:48
	;; [unrolled: 1-line block ×12, first 2 shown]
	s_mov_b32 s38, 0x4267c47c
	s_mov_b32 s20, 0x42a4c3d2
	;; [unrolled: 1-line block ×36, first 2 shown]
	s_waitcnt lgkmcnt(0)
	; wave barrier
	s_waitcnt vmcnt(11) lgkmcnt(0)
	v_mul_f64 v[144:145], v[2:3], v[110:111]
	v_mul_f64 v[170:171], v[64:65], v[110:111]
	;; [unrolled: 1-line block ×3, first 2 shown]
	s_waitcnt vmcnt(8)
	v_mul_f64 v[234:235], v[62:63], v[98:99]
	s_waitcnt vmcnt(7)
	v_mul_f64 v[216:217], v[90:91], v[186:187]
	v_mul_f64 v[142:143], v[20:21], v[110:111]
	v_mul_f64 v[208:209], v[66:67], v[106:107]
	v_mul_f64 v[110:111], v[22:23], v[106:107]
	v_mul_f64 v[210:211], v[92:93], v[106:107]
	v_mul_f64 v[160:161], v[48:49], v[106:107]
	v_mul_f64 v[212:213], v[94:95], v[102:103]
	v_mul_f64 v[156:157], v[50:51], v[102:103]
	v_mul_f64 v[150:151], v[46:47], v[186:187]
	s_waitcnt vmcnt(6)
	v_mul_f64 v[146:147], v[40:41], v[190:191]
	s_waitcnt vmcnt(4)
	v_mul_f64 v[222:223], v[80:81], v[114:115]
	;; [unrolled: 2-line block ×3, first 2 shown]
	v_mul_f64 v[232:233], v[60:61], v[102:103]
	v_mul_f64 v[106:107], v[12:13], v[102:103]
	;; [unrolled: 1-line block ×3, first 2 shown]
	v_fma_f64 v[172:173], v[6:7], v[108:109], -v[144:145]
	v_fma_f64 v[144:145], v[20:21], v[108:109], -v[170:171]
	;; [unrolled: 1-line block ×4, first 2 shown]
	v_mul_f64 v[14:15], v[52:53], v[118:119]
	v_mul_f64 v[218:219], v[84:85], v[190:191]
	;; [unrolled: 1-line block ×5, first 2 shown]
	v_fmac_f64_e32 v[164:165], v[2:3], v[108:109]
	v_fmac_f64_e32 v[142:143], v[64:65], v[108:109]
	v_fma_f64 v[108:109], v[22:23], v[104:105], -v[208:209]
	v_fmac_f64_e32 v[146:147], v[84:85], v[188:189]
	v_fma_f64 v[22:23], v[36:37], v[112:113], -v[222:223]
	v_fma_f64 v[84:85], v[38:39], v[192:193], -v[224:225]
	;; [unrolled: 1-line block ×3, first 2 shown]
	v_mul_f64 v[38:39], v[8:9], v[118:119]
	v_mul_f64 v[8:9], v[54:55], v[114:115]
	;; [unrolled: 1-line block ×3, first 2 shown]
	s_waitcnt vmcnt(0)
	v_mul_f64 v[168:169], v[174:175], v[206:207]
	v_fma_f64 v[6:7], v[42:43], v[116:117], -v[220:221]
	v_fma_f64 v[42:43], v[10:11], v[112:113], -v[8:9]
	v_mul_f64 v[8:9], v[72:73], v[194:195]
	v_mul_f64 v[214:215], v[88:89], v[98:99]
	;; [unrolled: 1-line block ×4, first 2 shown]
	v_fma_f64 v[170:171], v[48:49], v[104:105], -v[210:211]
	v_fmac_f64_e32 v[168:169], v[176:177], v[204:205]
	v_fma_f64 v[48:49], v[28:29], v[192:193], -v[8:9]
	v_mul_f64 v[8:9], v[74:75], v[198:199]
	v_mul_f64 v[154:155], v[44:45], v[98:99]
	;; [unrolled: 1-line block ×5, first 2 shown]
	v_fmac_f64_e32 v[110:111], v[66:67], v[104:105]
	v_fmac_f64_e32 v[160:161], v[92:93], v[104:105]
	v_fma_f64 v[92:93], v[44:45], v[96:97], -v[214:215]
	v_fmac_f64_e32 v[158:159], v[82:83], v[192:193]
	v_fma_f64 v[82:83], v[34:35], v[200:201], -v[228:229]
	v_fma_f64 v[64:65], v[12:13], v[100:101], -v[232:233]
	;; [unrolled: 1-line block ×3, first 2 shown]
	v_mul_f64 v[34:35], v[18:19], v[190:191]
	v_fmac_f64_e32 v[38:39], v[52:53], v[116:117]
	v_mul_f64 v[44:45], v[10:11], v[114:115]
	v_fma_f64 v[52:53], v[30:31], v[196:197], -v[8:9]
	v_mul_f64 v[8:9], v[68:69], v[202:203]
	v_mul_f64 v[66:67], v[26:27], v[206:207]
	v_add_f64 v[14:15], v[164:165], -v[168:169]
	v_mul_f64 v[226:227], v[76:77], v[198:199]
	v_mul_f64 v[186:187], v[58:59], v[190:191]
	v_fma_f64 v[104:105], v[50:51], v[100:101], -v[212:213]
	v_fma_f64 v[2:3], v[40:41], v[188:189], -v[218:219]
	v_fmac_f64_e32 v[106:107], v[60:61], v[100:101]
	v_fma_f64 v[40:41], v[16:17], v[184:185], -v[236:237]
	v_fmac_f64_e32 v[98:99], v[56:57], v[184:185]
	v_fmac_f64_e32 v[34:35], v[58:59], v[188:189]
	;; [unrolled: 1-line block ×3, first 2 shown]
	v_mul_f64 v[50:51], v[28:29], v[194:195]
	v_mul_f64 v[54:55], v[30:31], v[198:199]
	v_fma_f64 v[56:57], v[24:25], v[200:201], -v[8:9]
	v_mul_f64 v[58:59], v[24:25], v[202:203]
	v_mul_f64 v[8:9], v[70:71], v[206:207]
	v_fmac_f64_e32 v[66:67], v[70:71], v[204:205]
	v_add_f64 v[10:11], v[172:173], v[12:13]
	v_mul_f64 v[16:17], v[14:15], s[38:39]
	v_mul_f64 v[24:25], v[14:15], s[20:21]
	;; [unrolled: 1-line block ×7, first 2 shown]
	v_fmac_f64_e32 v[152:153], v[80:81], v[112:113]
	v_fma_f64 v[80:81], v[32:33], v[196:197], -v[226:227]
	v_fmac_f64_e32 v[166:167], v[78:79], v[200:201]
	v_fmac_f64_e32 v[102:103], v[62:63], v[96:97]
	v_fma_f64 v[32:33], v[18:19], v[188:189], -v[186:187]
	v_fmac_f64_e32 v[50:51], v[72:73], v[192:193]
	v_fmac_f64_e32 v[54:55], v[74:75], v[196:197]
	;; [unrolled: 1-line block ×3, first 2 shown]
	v_fma_f64 v[62:63], v[26:27], v[204:205], -v[8:9]
	v_fma_f64 v[18:19], v[10:11], s[2:3], -v[16:17]
	v_fmac_f64_e32 v[16:17], s[2:3], v[10:11]
	v_fma_f64 v[26:27], v[10:11], s[4:5], -v[24:25]
	v_fmac_f64_e32 v[24:25], s[4:5], v[10:11]
	;; [unrolled: 2-line block ×6, first 2 shown]
	v_add_f64 v[8:9], v[4:5], v[172:173]
	v_add_f64 v[18:19], v[4:5], v[18:19]
	;; [unrolled: 1-line block ×13, first 2 shown]
	v_add_f64 v[14:15], v[160:161], -v[166:167]
	v_fmac_f64_e32 v[162:163], v[76:77], v[196:197]
	v_add_f64 v[10:11], v[170:171], v[82:83]
	v_mul_f64 v[76:77], v[14:15], s[20:21]
	v_fma_f64 v[78:79], v[10:11], s[4:5], -v[76:77]
	v_fmac_f64_e32 v[76:77], s[4:5], v[10:11]
	v_add_f64 v[16:17], v[76:77], v[16:17]
	v_mul_f64 v[76:77], v[14:15], s[14:15]
	v_add_f64 v[18:19], v[78:79], v[18:19]
	v_fma_f64 v[78:79], v[10:11], s[18:19], -v[76:77]
	v_fmac_f64_e32 v[76:77], s[18:19], v[10:11]
	v_add_f64 v[24:25], v[76:77], v[24:25]
	v_mul_f64 v[76:77], v[14:15], s[26:27]
	v_add_f64 v[26:27], v[78:79], v[26:27]
	v_fma_f64 v[78:79], v[10:11], s[30:31], -v[76:77]
	v_fmac_f64_e32 v[76:77], s[30:31], v[10:11]
	v_add_f64 v[28:29], v[76:77], v[28:29]
	v_mul_f64 v[76:77], v[14:15], s[40:41]
	v_add_f64 v[30:31], v[78:79], v[30:31]
	v_fma_f64 v[78:79], v[10:11], s[24:25], -v[76:77]
	v_fmac_f64_e32 v[76:77], s[24:25], v[10:11]
	v_add_f64 v[60:61], v[76:77], v[60:61]
	v_mul_f64 v[76:77], v[14:15], s[34:35]
	v_add_f64 v[68:69], v[78:79], v[68:69]
	v_fma_f64 v[78:79], v[10:11], s[12:13], -v[76:77]
	v_fmac_f64_e32 v[76:77], s[12:13], v[10:11]
	v_mul_f64 v[14:15], v[14:15], s[36:37]
	v_fmac_f64_e32 v[156:157], v[94:95], v[100:101]
	v_add_f64 v[70:71], v[76:77], v[70:71]
	v_fma_f64 v[76:77], v[10:11], s[2:3], -v[14:15]
	v_fmac_f64_e32 v[14:15], s[2:3], v[10:11]
	v_add_f64 v[4:5], v[14:15], v[4:5]
	v_add_f64 v[14:15], v[156:157], -v[162:163]
	v_add_f64 v[74:75], v[76:77], v[74:75]
	v_add_f64 v[10:11], v[104:105], v[80:81]
	v_mul_f64 v[76:77], v[14:15], s[28:29]
	v_add_f64 v[72:73], v[78:79], v[72:73]
	v_fma_f64 v[78:79], v[10:11], s[12:13], -v[76:77]
	v_fmac_f64_e32 v[76:77], s[12:13], v[10:11]
	v_add_f64 v[16:17], v[76:77], v[16:17]
	v_mul_f64 v[76:77], v[14:15], s[26:27]
	v_add_f64 v[18:19], v[78:79], v[18:19]
	v_fma_f64 v[78:79], v[10:11], s[30:31], -v[76:77]
	v_fmac_f64_e32 v[76:77], s[30:31], v[10:11]
	v_add_f64 v[24:25], v[76:77], v[24:25]
	v_mul_f64 v[76:77], v[14:15], s[46:47]
	v_add_f64 v[26:27], v[78:79], v[26:27]
	v_fma_f64 v[78:79], v[10:11], s[18:19], -v[76:77]
	v_fmac_f64_e32 v[76:77], s[18:19], v[10:11]
	v_add_f64 v[28:29], v[76:77], v[28:29]
	v_mul_f64 v[76:77], v[14:15], s[36:37]
	v_add_f64 v[30:31], v[78:79], v[30:31]
	v_fma_f64 v[78:79], v[10:11], s[2:3], -v[76:77]
	v_fmac_f64_e32 v[76:77], s[2:3], v[10:11]
	v_add_f64 v[60:61], v[76:77], v[60:61]
	v_mul_f64 v[76:77], v[14:15], s[20:21]
	v_add_f64 v[68:69], v[78:79], v[68:69]
	v_fma_f64 v[78:79], v[10:11], s[4:5], -v[76:77]
	v_fmac_f64_e32 v[76:77], s[4:5], v[10:11]
	v_mul_f64 v[14:15], v[14:15], s[22:23]
	v_fmac_f64_e32 v[154:155], v[88:89], v[96:97]
	v_add_f64 v[70:71], v[76:77], v[70:71]
	v_fma_f64 v[76:77], v[10:11], s[24:25], -v[14:15]
	v_fmac_f64_e32 v[14:15], s[24:25], v[10:11]
	v_add_f64 v[4:5], v[14:15], v[4:5]
	v_add_f64 v[14:15], v[154:155], -v[158:159]
	v_add_f64 v[74:75], v[76:77], v[74:75]
	v_add_f64 v[10:11], v[92:93], v[84:85]
	v_mul_f64 v[76:77], v[14:15], s[14:15]
	v_add_f64 v[72:73], v[78:79], v[72:73]
	;; [unrolled: 33-line block ×4, first 2 shown]
	v_fma_f64 v[78:79], v[10:11], s[30:31], -v[76:77]
	v_fmac_f64_e32 v[76:77], s[30:31], v[10:11]
	v_add_f64 v[16:17], v[76:77], v[16:17]
	v_mul_f64 v[76:77], v[14:15], s[36:37]
	v_add_f64 v[8:9], v[8:9], v[170:171]
	v_add_f64 v[18:19], v[78:79], v[18:19]
	v_fma_f64 v[78:79], v[10:11], s[2:3], -v[76:77]
	v_fmac_f64_e32 v[76:77], s[2:3], v[10:11]
	v_add_f64 v[8:9], v[8:9], v[104:105]
	v_add_f64 v[24:25], v[76:77], v[24:25]
	v_mul_f64 v[76:77], v[14:15], s[22:23]
	v_add_f64 v[8:9], v[8:9], v[92:93]
	v_add_f64 v[26:27], v[78:79], v[26:27]
	v_fma_f64 v[78:79], v[10:11], s[24:25], -v[76:77]
	v_fmac_f64_e32 v[76:77], s[24:25], v[10:11]
	v_add_f64 v[8:9], v[8:9], v[20:21]
	;; [unrolled: 7-line block ×3, first 2 shown]
	v_add_f64 v[60:61], v[76:77], v[60:61]
	v_mul_f64 v[76:77], v[14:15], s[14:15]
	v_add_f64 v[8:9], v[8:9], v[22:23]
	v_add_f64 v[68:69], v[78:79], v[68:69]
	v_fma_f64 v[78:79], v[10:11], s[18:19], -v[76:77]
	v_fmac_f64_e32 v[76:77], s[18:19], v[10:11]
	v_mul_f64 v[14:15], v[14:15], s[34:35]
	v_add_f64 v[8:9], v[8:9], v[84:85]
	v_add_f64 v[70:71], v[76:77], v[70:71]
	v_fma_f64 v[76:77], v[10:11], s[12:13], -v[14:15]
	v_fmac_f64_e32 v[14:15], s[12:13], v[10:11]
	v_lshrrev_b32_e32 v10, 2, v178
	v_add_f64 v[8:9], v[8:9], v[80:81]
	v_mul_u32_u24_e32 v10, 52, v10
	v_add_f64 v[8:9], v[8:9], v[82:83]
	v_or_b32_e32 v10, v10, v183
	v_add_f64 v[8:9], v[8:9], v[12:13]
	v_add_f64 v[74:75], v[76:77], v[74:75]
	v_lshl_add_u32 v76, v10, 3, 0
	v_lshrrev_b32_e32 v86, 2, v135
	v_add_f64 v[72:73], v[78:79], v[72:73]
	v_add_f64 v[4:5], v[14:15], v[4:5]
	ds_write2_b64 v76, v[8:9], v[18:19] offset1:4
	ds_write2_b64 v76, v[26:27], v[30:31] offset0:8 offset1:12
	ds_write2_b64 v76, v[68:69], v[72:73] offset0:16 offset1:20
	;; [unrolled: 1-line block ×5, first 2 shown]
	ds_write_b64 v76, v[16:17] offset:384
	s_and_saveexec_b64 s[48:49], s[0:1]
	s_cbranch_execz .LBB0_33
; %bb.32:
	v_add_f64 v[112:113], v[142:143], -v[66:67]
	v_add_f64 v[90:91], v[110:111], -v[58:59]
	v_add_f64 v[100:101], v[144:145], v[62:63]
	v_mul_f64 v[114:115], v[112:113], s[26:27]
	v_add_f64 v[72:73], v[106:107], -v[54:55]
	v_add_f64 v[88:89], v[108:109], v[56:57]
	v_mul_f64 v[94:95], v[90:91], s[36:37]
	v_fma_f64 v[116:117], s[30:31], v[100:101], v[114:115]
	v_add_f64 v[30:31], v[102:103], -v[50:51]
	v_add_f64 v[70:71], v[64:65], v[52:53]
	v_mul_f64 v[74:75], v[72:73], s[22:23]
	v_fma_f64 v[96:97], s[2:3], v[88:89], v[94:95]
	v_add_f64 v[116:117], v[140:141], v[116:117]
	v_add_f64 v[18:19], v[98:99], -v[44:45]
	v_add_f64 v[28:29], v[46:47], v[48:49]
	v_mul_f64 v[60:61], v[30:31], s[42:43]
	v_fma_f64 v[78:79], s[24:25], v[70:71], v[74:75]
	v_add_f64 v[96:97], v[96:97], v[116:117]
	;; [unrolled: 5-line block ×3, first 2 shown]
	v_add_f64 v[4:5], v[32:33], v[36:37]
	v_mul_f64 v[10:11], v[8:9], s[34:35]
	v_fma_f64 v[26:27], s[18:19], v[16:17], v[24:25]
	v_add_f64 v[68:69], v[68:69], v[78:79]
	v_fma_f64 v[14:15], s[12:13], v[4:5], v[10:11]
	v_add_f64 v[26:27], v[26:27], v[68:69]
	v_add_f64 v[14:15], v[14:15], v[26:27]
	v_fma_f64 v[26:27], v[28:29], s[4:5], -v[60:61]
	v_fma_f64 v[60:61], v[70:71], s[24:25], -v[74:75]
	v_fma_f64 v[74:75], v[100:101], s[30:31], -v[114:115]
	v_fma_f64 v[68:69], v[88:89], s[2:3], -v[94:95]
	v_add_f64 v[74:75], v[140:141], v[74:75]
	v_mul_f64 v[118:119], v[112:113], s[22:23]
	v_add_f64 v[68:69], v[68:69], v[74:75]
	v_mul_f64 v[114:115], v[90:91], s[34:35]
	v_fma_f64 v[174:175], s[24:25], v[100:101], v[118:119]
	v_add_f64 v[60:61], v[60:61], v[68:69]
	v_mul_f64 v[94:95], v[72:73], s[20:21]
	v_fma_f64 v[116:117], s[12:13], v[88:89], v[114:115]
	v_add_f64 v[174:175], v[140:141], v[174:175]
	v_fma_f64 v[24:25], v[16:17], s[18:19], -v[24:25]
	v_add_f64 v[26:27], v[26:27], v[60:61]
	v_mul_f64 v[74:75], v[30:31], s[44:45]
	v_fma_f64 v[96:97], s[4:5], v[70:71], v[94:95]
	v_add_f64 v[116:117], v[116:117], v[174:175]
	v_fma_f64 v[10:11], v[4:5], s[12:13], -v[10:11]
	v_add_f64 v[24:25], v[24:25], v[26:27]
	v_mul_f64 v[60:61], v[18:19], s[36:37]
	v_fma_f64 v[78:79], s[30:31], v[28:29], v[74:75]
	v_add_f64 v[96:97], v[96:97], v[116:117]
	v_add_f64 v[10:11], v[10:11], v[24:25]
	v_mul_f64 v[24:25], v[8:9], s[14:15]
	v_fma_f64 v[68:69], s[2:3], v[16:17], v[60:61]
	v_add_f64 v[78:79], v[78:79], v[96:97]
	v_fma_f64 v[26:27], s[18:19], v[4:5], v[24:25]
	v_add_f64 v[68:69], v[68:69], v[78:79]
	v_add_f64 v[26:27], v[26:27], v[68:69]
	v_fma_f64 v[68:69], v[28:29], s[30:31], -v[74:75]
	v_fma_f64 v[74:75], v[70:71], s[4:5], -v[94:95]
	v_fma_f64 v[94:95], v[100:101], s[24:25], -v[118:119]
	v_fma_f64 v[78:79], v[88:89], s[12:13], -v[114:115]
	v_add_f64 v[94:95], v[140:141], v[94:95]
	v_mul_f64 v[176:177], v[112:113], s[14:15]
	v_add_f64 v[78:79], v[78:79], v[94:95]
	v_mul_f64 v[118:119], v[90:91], s[40:41]
	v_fma_f64 v[184:185], s[18:19], v[100:101], v[176:177]
	v_add_f64 v[74:75], v[74:75], v[78:79]
	v_mul_f64 v[114:115], v[72:73], s[36:37]
	v_fma_f64 v[174:175], s[24:25], v[88:89], v[118:119]
	v_add_f64 v[184:185], v[140:141], v[184:185]
	v_fma_f64 v[60:61], v[16:17], s[2:3], -v[60:61]
	v_add_f64 v[68:69], v[68:69], v[74:75]
	v_mul_f64 v[94:95], v[30:31], s[28:29]
	v_fma_f64 v[116:117], s[2:3], v[70:71], v[114:115]
	v_add_f64 v[174:175], v[174:175], v[184:185]
	v_fma_f64 v[24:25], v[4:5], s[18:19], -v[24:25]
	v_add_f64 v[60:61], v[60:61], v[68:69]
	v_mul_f64 v[74:75], v[18:19], s[44:45]
	v_fma_f64 v[96:97], s[12:13], v[28:29], v[94:95]
	v_add_f64 v[116:117], v[116:117], v[174:175]
	;; [unrolled: 30-line block ×4, first 2 shown]
	v_add_f64 v[74:75], v[74:75], v[94:95]
	v_mul_f64 v[94:95], v[8:9], s[36:37]
	v_fma_f64 v[116:117], s[12:13], v[16:17], v[114:115]
	v_add_f64 v[174:175], v[174:175], v[184:185]
	v_fma_f64 v[96:97], s[2:3], v[4:5], v[94:95]
	v_add_f64 v[116:117], v[116:117], v[174:175]
	v_add_f64 v[96:97], v[96:97], v[116:117]
	v_fma_f64 v[116:117], v[28:29], s[24:25], -v[118:119]
	v_fma_f64 v[118:119], v[70:71], s[30:31], -v[176:177]
	;; [unrolled: 1-line block ×4, first 2 shown]
	v_add_f64 v[176:177], v[140:141], v[176:177]
	v_add_f64 v[174:175], v[174:175], v[176:177]
	;; [unrolled: 1-line block ×3, first 2 shown]
	v_fma_f64 v[114:115], v[16:17], s[12:13], -v[114:115]
	v_add_f64 v[116:117], v[116:117], v[118:119]
	v_fma_f64 v[94:95], v[4:5], s[2:3], -v[94:95]
	v_add_f64 v[114:115], v[114:115], v[116:117]
	v_mul_f64 v[8:9], v[8:9], s[26:27]
	v_mul_f64 v[18:19], v[18:19], s[22:23]
	;; [unrolled: 1-line block ×4, first 2 shown]
	v_add_f64 v[94:95], v[94:95], v[114:115]
	v_fma_f64 v[114:115], s[30:31], v[4:5], v[8:9]
	v_fma_f64 v[116:117], s[24:25], v[16:17], v[18:19]
	v_fma_f64 v[118:119], s[18:19], v[28:29], v[30:31]
	v_mul_f64 v[90:91], v[90:91], s[20:21]
	v_fma_f64 v[4:5], v[4:5], s[30:31], -v[8:9]
	v_fma_f64 v[8:9], v[16:17], s[24:25], -v[18:19]
	;; [unrolled: 1-line block ×4, first 2 shown]
	v_mul_f64 v[72:73], v[72:73], s[28:29]
	v_fma_f64 v[28:29], v[88:89], s[4:5], -v[90:91]
	v_add_f64 v[30:31], v[140:141], v[30:31]
	v_fma_f64 v[18:19], v[70:71], s[12:13], -v[72:73]
	v_add_f64 v[28:29], v[28:29], v[30:31]
	v_add_f64 v[18:19], v[18:19], v[28:29]
	;; [unrolled: 1-line block ×11, first 2 shown]
	v_fma_f64 v[184:185], s[2:3], v[100:101], v[112:113]
	v_add_f64 v[8:9], v[8:9], v[36:37]
	v_fma_f64 v[176:177], s[4:5], v[88:89], v[90:91]
	v_add_f64 v[184:185], v[140:141], v[184:185]
	v_add_f64 v[8:9], v[8:9], v[42:43]
	v_fma_f64 v[174:175], s[12:13], v[70:71], v[72:73]
	v_add_f64 v[176:177], v[176:177], v[184:185]
	v_add_f64 v[8:9], v[8:9], v[48:49]
	;; [unrolled: 1-line block ×4, first 2 shown]
	v_mul_lo_u32 v16, v86, 52
	v_add_f64 v[118:119], v[118:119], v[174:175]
	v_add_f64 v[8:9], v[8:9], v[56:57]
	v_or_b32_e32 v16, v16, v183
	v_add_f64 v[116:117], v[116:117], v[118:119]
	v_add_f64 v[8:9], v[8:9], v[62:63]
	v_lshl_add_u32 v16, v16, 3, 0
	v_add_f64 v[114:115], v[114:115], v[116:117]
	ds_write2_b64 v16, v[8:9], v[4:5] offset1:4
	ds_write2_b64 v16, v[94:95], v[74:75] offset0:8 offset1:12
	ds_write2_b64 v16, v[60:61], v[24:25] offset0:16 offset1:20
	;; [unrolled: 1-line block ×5, first 2 shown]
	ds_write_b64 v16, v[114:115] offset:384
.LBB0_33:
	s_or_b64 exec, exec, s[48:49]
	v_add_f64 v[4:5], v[0:1], v[164:165]
	v_add_f64 v[4:5], v[4:5], v[160:161]
	;; [unrolled: 1-line block ×11, first 2 shown]
	v_add_f64 v[8:9], v[172:173], -v[12:13]
	v_add_f64 v[88:89], v[4:5], v[168:169]
	v_add_f64 v[4:5], v[164:165], v[168:169]
	v_mul_f64 v[10:11], v[8:9], s[38:39]
	v_mul_f64 v[14:15], v[8:9], s[20:21]
	;; [unrolled: 1-line block ×6, first 2 shown]
	v_fma_f64 v[12:13], s[2:3], v[4:5], v[10:11]
	v_fma_f64 v[10:11], v[4:5], s[2:3], -v[10:11]
	v_fma_f64 v[16:17], s[4:5], v[4:5], v[14:15]
	v_fma_f64 v[14:15], v[4:5], s[4:5], -v[14:15]
	;; [unrolled: 2-line block ×6, first 2 shown]
	v_add_f64 v[8:9], v[170:171], -v[82:83]
	v_add_f64 v[12:13], v[0:1], v[12:13]
	v_add_f64 v[10:11], v[0:1], v[10:11]
	v_add_f64 v[16:17], v[0:1], v[16:17]
	v_add_f64 v[14:15], v[0:1], v[14:15]
	v_add_f64 v[24:25], v[0:1], v[24:25]
	v_add_f64 v[18:19], v[0:1], v[18:19]
	v_add_f64 v[28:29], v[0:1], v[28:29]
	v_add_f64 v[26:27], v[0:1], v[26:27]
	v_add_f64 v[60:61], v[0:1], v[60:61]
	v_add_f64 v[30:31], v[0:1], v[30:31]
	v_add_f64 v[68:69], v[0:1], v[68:69]
	v_add_f64 v[0:1], v[0:1], v[4:5]
	v_add_f64 v[4:5], v[160:161], v[166:167]
	v_mul_f64 v[70:71], v[8:9], s[20:21]
	v_fma_f64 v[72:73], s[4:5], v[4:5], v[70:71]
	v_fma_f64 v[70:71], v[4:5], s[4:5], -v[70:71]
	v_add_f64 v[10:11], v[70:71], v[10:11]
	v_mul_f64 v[70:71], v[8:9], s[14:15]
	v_add_f64 v[12:13], v[72:73], v[12:13]
	v_fma_f64 v[72:73], s[18:19], v[4:5], v[70:71]
	v_fma_f64 v[70:71], v[4:5], s[18:19], -v[70:71]
	v_add_f64 v[14:15], v[70:71], v[14:15]
	v_mul_f64 v[70:71], v[8:9], s[26:27]
	v_add_f64 v[16:17], v[72:73], v[16:17]
	v_fma_f64 v[72:73], s[30:31], v[4:5], v[70:71]
	v_fma_f64 v[70:71], v[4:5], s[30:31], -v[70:71]
	v_add_f64 v[18:19], v[70:71], v[18:19]
	v_mul_f64 v[70:71], v[8:9], s[40:41]
	v_add_f64 v[24:25], v[72:73], v[24:25]
	v_fma_f64 v[72:73], s[24:25], v[4:5], v[70:71]
	v_fma_f64 v[70:71], v[4:5], s[24:25], -v[70:71]
	v_add_f64 v[26:27], v[70:71], v[26:27]
	v_mul_f64 v[70:71], v[8:9], s[34:35]
	v_add_f64 v[28:29], v[72:73], v[28:29]
	v_fma_f64 v[72:73], s[12:13], v[4:5], v[70:71]
	v_fma_f64 v[70:71], v[4:5], s[12:13], -v[70:71]
	v_mul_f64 v[8:9], v[8:9], s[36:37]
	v_add_f64 v[30:31], v[70:71], v[30:31]
	v_fma_f64 v[70:71], s[2:3], v[4:5], v[8:9]
	v_fma_f64 v[4:5], v[4:5], s[2:3], -v[8:9]
	v_add_f64 v[8:9], v[104:105], -v[80:81]
	v_add_f64 v[68:69], v[70:71], v[68:69]
	v_add_f64 v[0:1], v[4:5], v[0:1]
	;; [unrolled: 1-line block ×3, first 2 shown]
	v_mul_f64 v[70:71], v[8:9], s[28:29]
	v_add_f64 v[60:61], v[72:73], v[60:61]
	v_fma_f64 v[72:73], s[12:13], v[4:5], v[70:71]
	v_fma_f64 v[70:71], v[4:5], s[12:13], -v[70:71]
	v_add_f64 v[10:11], v[70:71], v[10:11]
	v_mul_f64 v[70:71], v[8:9], s[26:27]
	v_add_f64 v[12:13], v[72:73], v[12:13]
	v_fma_f64 v[72:73], s[30:31], v[4:5], v[70:71]
	v_fma_f64 v[70:71], v[4:5], s[30:31], -v[70:71]
	v_add_f64 v[14:15], v[70:71], v[14:15]
	;; [unrolled: 5-line block ×4, first 2 shown]
	v_mul_f64 v[70:71], v[8:9], s[20:21]
	v_add_f64 v[28:29], v[72:73], v[28:29]
	v_fma_f64 v[72:73], s[4:5], v[4:5], v[70:71]
	v_fma_f64 v[70:71], v[4:5], s[4:5], -v[70:71]
	v_mul_f64 v[8:9], v[8:9], s[22:23]
	v_add_f64 v[30:31], v[70:71], v[30:31]
	v_fma_f64 v[70:71], s[24:25], v[4:5], v[8:9]
	v_fma_f64 v[4:5], v[4:5], s[24:25], -v[8:9]
	v_add_f64 v[8:9], v[92:93], -v[84:85]
	v_add_f64 v[68:69], v[70:71], v[68:69]
	v_add_f64 v[0:1], v[4:5], v[0:1]
	;; [unrolled: 1-line block ×3, first 2 shown]
	v_mul_f64 v[70:71], v[8:9], s[14:15]
	v_add_f64 v[60:61], v[72:73], v[60:61]
	v_fma_f64 v[72:73], s[18:19], v[4:5], v[70:71]
	v_fma_f64 v[70:71], v[4:5], s[18:19], -v[70:71]
	v_add_f64 v[10:11], v[70:71], v[10:11]
	v_mul_f64 v[70:71], v[8:9], s[40:41]
	v_add_f64 v[12:13], v[72:73], v[12:13]
	v_fma_f64 v[72:73], s[24:25], v[4:5], v[70:71]
	v_fma_f64 v[70:71], v[4:5], s[24:25], -v[70:71]
	v_add_f64 v[14:15], v[70:71], v[14:15]
	;; [unrolled: 5-line block ×4, first 2 shown]
	v_mul_f64 v[70:71], v[8:9], s[44:45]
	v_add_f64 v[28:29], v[72:73], v[28:29]
	v_fma_f64 v[72:73], s[30:31], v[4:5], v[70:71]
	v_fma_f64 v[70:71], v[4:5], s[30:31], -v[70:71]
	v_mul_f64 v[8:9], v[8:9], s[42:43]
	v_add_f64 v[30:31], v[70:71], v[30:31]
	v_fma_f64 v[70:71], s[4:5], v[4:5], v[8:9]
	v_fma_f64 v[4:5], v[4:5], s[4:5], -v[8:9]
	v_add_f64 v[8:9], v[20:21], -v[22:23]
	v_add_f64 v[0:1], v[4:5], v[0:1]
	v_add_f64 v[4:5], v[150:151], v[152:153]
	v_mul_f64 v[20:21], v[8:9], s[22:23]
	v_fma_f64 v[22:23], s[24:25], v[4:5], v[20:21]
	v_fma_f64 v[20:21], v[4:5], s[24:25], -v[20:21]
	v_add_f64 v[10:11], v[20:21], v[10:11]
	v_mul_f64 v[20:21], v[8:9], s[34:35]
	v_add_f64 v[12:13], v[22:23], v[12:13]
	v_fma_f64 v[22:23], s[12:13], v[4:5], v[20:21]
	v_fma_f64 v[20:21], v[4:5], s[12:13], -v[20:21]
	v_add_f64 v[14:15], v[20:21], v[14:15]
	v_mul_f64 v[20:21], v[8:9], s[20:21]
	v_add_f64 v[16:17], v[22:23], v[16:17]
	;; [unrolled: 5-line block ×4, first 2 shown]
	v_fma_f64 v[28:29], s[2:3], v[4:5], v[26:27]
	v_fma_f64 v[26:27], v[4:5], s[2:3], -v[26:27]
	v_mul_f64 v[8:9], v[8:9], s[14:15]
	v_add_f64 v[26:27], v[26:27], v[30:31]
	v_fma_f64 v[30:31], s[18:19], v[4:5], v[8:9]
	v_fma_f64 v[4:5], v[4:5], s[18:19], -v[8:9]
	v_add_f64 v[2:3], v[2:3], -v[6:7]
	v_add_f64 v[0:1], v[4:5], v[0:1]
	v_add_f64 v[4:5], v[146:147], v[148:149]
	v_mul_f64 v[6:7], v[2:3], s[26:27]
	v_fma_f64 v[8:9], s[30:31], v[4:5], v[6:7]
	v_fma_f64 v[6:7], v[4:5], s[30:31], -v[6:7]
	v_add_f64 v[90:91], v[6:7], v[10:11]
	v_mul_f64 v[6:7], v[2:3], s[36:37]
	v_add_f64 v[84:85], v[8:9], v[12:13]
	v_fma_f64 v[8:9], s[2:3], v[4:5], v[6:7]
	v_fma_f64 v[6:7], v[4:5], s[2:3], -v[6:7]
	v_add_f64 v[94:95], v[6:7], v[14:15]
	v_mul_f64 v[6:7], v[2:3], s[22:23]
	v_add_f64 v[92:93], v[8:9], v[16:17]
	;; [unrolled: 5-line block ×4, first 2 shown]
	v_add_f64 v[68:69], v[70:71], v[68:69]
	v_add_f64 v[104:105], v[8:9], v[24:25]
	v_fma_f64 v[8:9], s[18:19], v[4:5], v[6:7]
	v_fma_f64 v[6:7], v[4:5], s[18:19], -v[6:7]
	v_mul_f64 v[2:3], v[2:3], s[34:35]
	v_add_f64 v[28:29], v[28:29], v[60:61]
	v_add_f64 v[30:31], v[30:31], v[68:69]
	;; [unrolled: 1-line block ×3, first 2 shown]
	v_fma_f64 v[6:7], s[12:13], v[4:5], v[2:3]
	v_fma_f64 v[2:3], v[4:5], s[12:13], -v[2:3]
	v_add_u32_e32 v78, 0x1000, v179
	v_add_u32_e32 v80, 0x1800, v179
	;; [unrolled: 1-line block ×5, first 2 shown]
	v_add_f64 v[114:115], v[8:9], v[28:29]
	v_add_f64 v[118:119], v[6:7], v[30:31]
	;; [unrolled: 1-line block ×3, first 2 shown]
	s_waitcnt lgkmcnt(0)
	; wave barrier
	s_waitcnt lgkmcnt(0)
	ds_read2_b64 v[0:3], v179 offset1:208
	ds_read_b64 v[72:73], v182
	ds_read_b64 v[70:71], v137
	ds_read2_b64 v[12:15], v78 offset0:60 offset1:112
	ds_read2_b64 v[28:31], v80 offset0:12 offset1:64
	;; [unrolled: 1-line block ×3, first 2 shown]
	ds_read_b64 v[68:69], v125
	ds_read2_b64 v[24:27], v79 offset0:4 offset1:108
	ds_read2_b64 v[20:23], v81 offset0:32 offset1:136
	;; [unrolled: 1-line block ×4, first 2 shown]
	ds_read_b64 v[74:75], v181
	ds_read_b64 v[60:61], v133
	s_waitcnt lgkmcnt(0)
	; wave barrier
	s_waitcnt lgkmcnt(0)
	ds_write2_b64 v76, v[88:89], v[84:85] offset1:4
	ds_write2_b64 v76, v[92:93], v[96:97] offset0:8 offset1:12
	ds_write2_b64 v76, v[104:105], v[114:115] offset0:16 offset1:20
	;; [unrolled: 1-line block ×5, first 2 shown]
	ds_write_b64 v76, v[90:91] offset:384
	s_and_saveexec_b64 s[2:3], s[0:1]
	s_cbranch_execz .LBB0_35
; %bb.34:
	v_add_f64 v[76:77], v[138:139], v[142:143]
	v_add_f64 v[76:77], v[76:77], v[110:111]
	;; [unrolled: 1-line block ×10, first 2 shown]
	s_mov_b32 s22, 0x42a4c3d2
	s_mov_b32 s34, 0x66966769
	;; [unrolled: 1-line block ×5, first 2 shown]
	v_add_f64 v[76:77], v[76:77], v[58:59]
	v_add_f64 v[62:63], v[144:145], -v[62:63]
	s_mov_b32 s1, 0xbfddbe06
	s_mov_b32 s0, 0x4267c47c
	s_mov_b32 s4, 0xe00740e9
	s_mov_b32 s23, 0xbfea55e2
	s_mov_b32 s12, 0x1ea71119
	s_mov_b32 s35, 0xbfefc445
	s_mov_b32 s14, 0xebaa3ed8
	s_mov_b32 s19, 0xbfedeba7
	s_mov_b32 s20, 0xb2365da1
	s_mov_b32 s25, 0xbfe5384d
	s_mov_b32 s26, 0xd0032e0c
	s_mov_b32 s29, 0xbfcea1e5
	v_add_f64 v[76:77], v[76:77], v[66:67]
	v_add_f64 v[66:67], v[142:143], v[66:67]
	v_mul_f64 v[84:85], v[62:63], s[0:1]
	s_mov_b32 s5, 0x3fec55a7
	v_mul_f64 v[90:91], v[62:63], s[22:23]
	s_mov_b32 s13, 0x3fe22d96
	;; [unrolled: 2-line block ×5, first 2 shown]
	v_mul_f64 v[62:63], v[62:63], s[28:29]
	v_add_f64 v[56:57], v[108:109], -v[56:57]
	v_fma_f64 v[88:89], s[4:5], v[66:67], v[84:85]
	v_fma_f64 v[84:85], v[66:67], s[4:5], -v[84:85]
	v_fma_f64 v[92:93], s[12:13], v[66:67], v[90:91]
	v_fma_f64 v[90:91], v[66:67], s[12:13], -v[90:91]
	;; [unrolled: 2-line block ×6, first 2 shown]
	v_add_f64 v[58:59], v[110:111], v[58:59]
	v_mul_f64 v[66:67], v[56:57], s[22:23]
	v_add_f64 v[84:85], v[138:139], v[84:85]
	v_fma_f64 v[108:109], s[12:13], v[58:59], v[66:67]
	v_fma_f64 v[66:67], v[58:59], s[12:13], -v[66:67]
	v_add_f64 v[88:89], v[138:139], v[88:89]
	v_add_f64 v[66:67], v[66:67], v[84:85]
	v_mul_f64 v[84:85], v[56:57], s[18:19]
	v_add_f64 v[90:91], v[138:139], v[90:91]
	v_add_f64 v[88:89], v[108:109], v[88:89]
	v_fma_f64 v[108:109], s[20:21], v[58:59], v[84:85]
	v_fma_f64 v[84:85], v[58:59], s[20:21], -v[84:85]
	v_add_f64 v[92:93], v[138:139], v[92:93]
	v_add_f64 v[84:85], v[84:85], v[90:91]
	v_mul_f64 v[90:91], v[56:57], s[28:29]
	v_add_f64 v[94:95], v[138:139], v[94:95]
	v_add_f64 v[92:93], v[108:109], v[92:93]
	v_fma_f64 v[108:109], s[30:31], v[58:59], v[90:91]
	v_fma_f64 v[90:91], v[58:59], s[30:31], -v[90:91]
	s_mov_b32 s39, 0x3fe5384d
	s_mov_b32 s38, s24
	v_add_f64 v[96:97], v[138:139], v[96:97]
	v_add_f64 v[90:91], v[90:91], v[94:95]
	v_mul_f64 v[94:95], v[56:57], s[38:39]
	v_add_f64 v[100:101], v[138:139], v[100:101]
	v_add_f64 v[96:97], v[108:109], v[96:97]
	v_fma_f64 v[108:109], s[26:27], v[58:59], v[94:95]
	v_fma_f64 v[94:95], v[58:59], s[26:27], -v[94:95]
	s_mov_b32 s37, 0x3fefc445
	s_mov_b32 s36, s34
	;; [unrolled: 1-line block ×3, first 2 shown]
	v_add_f64 v[104:105], v[138:139], v[104:105]
	v_add_f64 v[94:95], v[94:95], v[100:101]
	v_mul_f64 v[100:101], v[56:57], s[36:37]
	v_mul_f64 v[56:57], v[56:57], s[0:1]
	v_add_f64 v[52:53], v[64:65], -v[52:53]
	v_add_f64 v[62:63], v[138:139], v[62:63]
	v_add_f64 v[104:105], v[108:109], v[104:105]
	v_fma_f64 v[108:109], s[14:15], v[58:59], v[100:101]
	v_fma_f64 v[100:101], v[58:59], s[14:15], -v[100:101]
	v_fma_f64 v[110:111], s[4:5], v[58:59], v[56:57]
	v_fma_f64 v[56:57], v[58:59], s[4:5], -v[56:57]
	v_add_f64 v[54:55], v[106:107], v[54:55]
	v_mul_f64 v[58:59], v[52:53], s[34:35]
	v_add_f64 v[56:57], v[56:57], v[62:63]
	v_fma_f64 v[62:63], s[14:15], v[54:55], v[58:59]
	v_fma_f64 v[58:59], v[54:55], s[14:15], -v[58:59]
	v_mul_f64 v[64:65], v[52:53], s[28:29]
	v_add_f64 v[58:59], v[58:59], v[66:67]
	v_fma_f64 v[66:67], s[30:31], v[54:55], v[64:65]
	v_fma_f64 v[64:65], v[54:55], s[30:31], -v[64:65]
	s_mov_b32 s41, 0x3fedeba7
	s_mov_b32 s40, s18
	v_add_f64 v[64:65], v[64:65], v[84:85]
	v_mul_f64 v[84:85], v[52:53], s[40:41]
	v_add_f64 v[62:63], v[62:63], v[88:89]
	v_fma_f64 v[88:89], s[20:21], v[54:55], v[84:85]
	v_fma_f64 v[84:85], v[54:55], s[20:21], -v[84:85]
	v_add_f64 v[84:85], v[84:85], v[90:91]
	v_mul_f64 v[90:91], v[52:53], s[0:1]
	v_add_f64 v[66:67], v[66:67], v[92:93]
	v_fma_f64 v[92:93], s[4:5], v[54:55], v[90:91]
	v_fma_f64 v[90:91], v[54:55], s[4:5], -v[90:91]
	v_add_f64 v[112:113], v[138:139], v[112:113]
	v_add_f64 v[90:91], v[90:91], v[94:95]
	v_mul_f64 v[94:95], v[52:53], s[22:23]
	v_add_f64 v[100:101], v[100:101], v[112:113]
	v_add_f64 v[88:89], v[88:89], v[96:97]
	v_fma_f64 v[96:97], s[12:13], v[54:55], v[94:95]
	v_fma_f64 v[94:95], v[54:55], s[12:13], -v[94:95]
	v_mul_f64 v[52:53], v[52:53], s[24:25]
	v_add_f64 v[46:47], v[46:47], -v[48:49]
	v_add_f64 v[94:95], v[94:95], v[100:101]
	v_fma_f64 v[100:101], s[26:27], v[54:55], v[52:53]
	v_fma_f64 v[52:53], v[54:55], s[26:27], -v[52:53]
	v_add_f64 v[50:51], v[102:103], v[50:51]
	v_mul_f64 v[48:49], v[46:47], s[18:19]
	v_add_f64 v[52:53], v[52:53], v[56:57]
	v_fma_f64 v[54:55], s[20:21], v[50:51], v[48:49]
	v_fma_f64 v[48:49], v[50:51], s[20:21], -v[48:49]
	v_mul_f64 v[56:57], v[46:47], s[38:39]
	v_add_f64 v[54:55], v[54:55], v[62:63]
	v_add_f64 v[48:49], v[48:49], v[58:59]
	v_fma_f64 v[58:59], s[26:27], v[50:51], v[56:57]
	v_fma_f64 v[56:57], v[50:51], s[26:27], -v[56:57]
	v_mul_f64 v[62:63], v[46:47], s[0:1]
	v_add_f64 v[58:59], v[58:59], v[66:67]
	v_add_f64 v[56:57], v[56:57], v[64:65]
	v_fma_f64 v[64:65], s[4:5], v[50:51], v[62:63]
	v_fma_f64 v[62:63], v[50:51], s[4:5], -v[62:63]
	v_mul_f64 v[66:67], v[46:47], s[34:35]
	s_mov_b32 s35, 0x3fcea1e5
	s_mov_b32 s34, s28
	;; [unrolled: 1-line block ×4, first 2 shown]
	v_add_f64 v[40:41], v[40:41], -v[42:43]
	v_add_f64 v[92:93], v[92:93], v[104:105]
	v_add_f64 v[64:65], v[64:65], v[88:89]
	;; [unrolled: 1-line block ×3, first 2 shown]
	v_fma_f64 v[84:85], s[14:15], v[50:51], v[66:67]
	v_fma_f64 v[66:67], v[50:51], s[14:15], -v[66:67]
	v_mul_f64 v[88:89], v[46:47], s[34:35]
	v_mul_f64 v[46:47], v[46:47], s[38:39]
	v_add_f64 v[44:45], v[98:99], v[44:45]
	v_mul_f64 v[42:43], v[40:41], s[24:25]
	v_add_f64 v[84:85], v[84:85], v[92:93]
	v_add_f64 v[66:67], v[66:67], v[90:91]
	v_fma_f64 v[90:91], s[30:31], v[50:51], v[88:89]
	v_fma_f64 v[88:89], v[50:51], s[30:31], -v[88:89]
	v_fma_f64 v[92:93], s[12:13], v[50:51], v[46:47]
	v_fma_f64 v[46:47], v[50:51], s[12:13], -v[46:47]
	;; [unrolled: 2-line block ×3, first 2 shown]
	v_add_f64 v[42:43], v[42:43], v[48:49]
	v_mul_f64 v[48:49], v[40:41], s[36:37]
	v_add_f64 v[46:47], v[46:47], v[52:53]
	v_add_f64 v[50:51], v[50:51], v[54:55]
	v_fma_f64 v[52:53], s[14:15], v[44:45], v[48:49]
	v_fma_f64 v[48:49], v[44:45], s[14:15], -v[48:49]
	v_mul_f64 v[54:55], v[40:41], s[22:23]
	v_add_f64 v[32:33], v[32:33], -v[36:37]
	v_add_f64 v[52:53], v[52:53], v[58:59]
	v_add_f64 v[48:49], v[48:49], v[56:57]
	v_fma_f64 v[56:57], s[12:13], v[44:45], v[54:55]
	v_fma_f64 v[54:55], v[44:45], s[12:13], -v[54:55]
	v_mul_f64 v[58:59], v[40:41], s[34:35]
	v_add_f64 v[34:35], v[34:35], v[38:39]
	v_mul_f64 v[36:37], v[32:33], s[28:29]
	v_add_f64 v[56:57], v[56:57], v[64:65]
	v_add_f64 v[54:55], v[54:55], v[62:63]
	v_fma_f64 v[62:63], s[30:31], v[44:45], v[58:59]
	v_mul_f64 v[64:65], v[40:41], s[0:1]
	v_mul_f64 v[40:41], v[40:41], s[18:19]
	v_fma_f64 v[38:39], s[30:31], v[34:35], v[36:37]
	v_fma_f64 v[36:37], v[34:35], s[30:31], -v[36:37]
	v_add_f64 v[62:63], v[62:63], v[84:85]
	v_fma_f64 v[58:59], v[44:45], s[30:31], -v[58:59]
	v_fma_f64 v[84:85], s[20:21], v[44:45], v[40:41]
	v_fma_f64 v[40:41], v[44:45], s[20:21], -v[40:41]
	v_add_f64 v[36:37], v[36:37], v[42:43]
	v_mul_f64 v[42:43], v[32:33], s[0:1]
	v_add_f64 v[58:59], v[58:59], v[66:67]
	v_fma_f64 v[66:67], s[4:5], v[44:45], v[64:65]
	v_fma_f64 v[64:65], v[44:45], s[4:5], -v[64:65]
	v_add_f64 v[40:41], v[40:41], v[46:47]
	v_fma_f64 v[44:45], s[4:5], v[34:35], v[42:43]
	v_fma_f64 v[42:43], v[34:35], s[4:5], -v[42:43]
	v_mul_f64 v[46:47], v[32:33], s[24:25]
	v_add_f64 v[114:115], v[138:139], v[114:115]
	v_add_f64 v[116:117], v[138:139], v[116:117]
	;; [unrolled: 1-line block ×4, first 2 shown]
	v_fma_f64 v[48:49], s[26:27], v[34:35], v[46:47]
	v_fma_f64 v[46:47], v[34:35], s[26:27], -v[46:47]
	v_mul_f64 v[50:51], v[32:33], s[38:39]
	v_add_f64 v[108:109], v[108:109], v[114:115]
	v_add_f64 v[110:111], v[110:111], v[116:117]
	;; [unrolled: 1-line block ×4, first 2 shown]
	v_fma_f64 v[52:53], s[12:13], v[34:35], v[50:51]
	v_fma_f64 v[50:51], v[34:35], s[12:13], -v[50:51]
	v_mul_f64 v[54:55], v[32:33], s[18:19]
	v_mul_f64 v[32:33], v[32:33], s[36:37]
	v_add_f64 v[96:97], v[96:97], v[108:109]
	v_add_f64 v[100:101], v[100:101], v[110:111]
	;; [unrolled: 1-line block ×4, first 2 shown]
	v_fma_f64 v[56:57], s[20:21], v[34:35], v[54:55]
	v_fma_f64 v[54:55], v[34:35], s[20:21], -v[54:55]
	v_fma_f64 v[58:59], s[14:15], v[34:35], v[32:33]
	v_fma_f64 v[32:33], v[34:35], s[14:15], -v[32:33]
	v_mul_lo_u32 v34, v86, 52
	v_add_f64 v[90:91], v[90:91], v[96:97]
	v_add_f64 v[88:89], v[88:89], v[94:95]
	;; [unrolled: 1-line block ×3, first 2 shown]
	v_or_b32_e32 v34, v34, v183
	v_add_f64 v[66:67], v[66:67], v[90:91]
	v_add_f64 v[64:65], v[64:65], v[88:89]
	;; [unrolled: 1-line block ×3, first 2 shown]
	v_lshl_add_u32 v34, v34, 3, 0
	v_add_f64 v[52:53], v[52:53], v[62:63]
	v_add_f64 v[56:57], v[56:57], v[66:67]
	;; [unrolled: 1-line block ×5, first 2 shown]
	ds_write2_b64 v34, v[76:77], v[38:39] offset1:4
	ds_write2_b64 v34, v[44:45], v[48:49] offset0:8 offset1:12
	ds_write2_b64 v34, v[52:53], v[56:57] offset0:16 offset1:20
	;; [unrolled: 1-line block ×5, first 2 shown]
	ds_write_b64 v34, v[36:37] offset:384
.LBB0_35:
	s_or_b64 exec, exec, s[2:3]
	v_mul_u32_u24_e32 v32, 6, v178
	v_lshlrev_b32_e32 v32, 4, v32
	s_movk_i32 s0, 0x4f
	s_waitcnt lgkmcnt(0)
	; wave barrier
	s_waitcnt lgkmcnt(0)
	global_load_dwordx4 v[36:39], v32, s[8:9] offset:800
	global_load_dwordx4 v[40:43], v32, s[8:9] offset:816
	;; [unrolled: 1-line block ×6, first 2 shown]
	v_mul_lo_u16_sdwa v32, v131, s0 dst_sel:DWORD dst_unused:UNUSED_PAD src0_sel:BYTE_0 src1_sel:DWORD
	v_lshrrev_b16_e32 v32, 12, v32
	v_mul_lo_u16_e32 v32, 52, v32
	v_sub_u16_e32 v32, v131, v32
	v_and_b32_e32 v131, 0xff, v32
	v_mul_u32_u24_e32 v32, 6, v131
	v_lshlrev_b32_e32 v32, 4, v32
	global_load_dwordx4 v[62:65], v32, s[8:9] offset:800
	global_load_dwordx4 v[84:87], v32, s[8:9] offset:816
	;; [unrolled: 1-line block ×6, first 2 shown]
	ds_read2_b64 v[104:107], v179 offset1:208
	ds_read_b64 v[66:67], v182
	ds_read_b64 v[76:77], v137
	ds_read2_b64 v[108:111], v78 offset0:60 offset1:112
	ds_read2_b64 v[112:115], v80 offset0:12 offset1:64
	;; [unrolled: 1-line block ×3, first 2 shown]
	ds_read_b64 v[34:35], v125
	ds_read2_b64 v[138:141], v79 offset0:4 offset1:108
	ds_read_b64 v[154:155], v181
	ds_read2_b64 v[142:145], v81 offset0:32 offset1:136
	ds_read2_b64 v[146:149], v78 offset0:164 offset1:216
	ds_read2_b64 v[150:153], v82 offset0:92 offset1:144
	ds_read_b64 v[32:33], v133
	s_mov_b32 s2, 0x37e14327
	s_mov_b32 s0, 0x36b3c0b5
	;; [unrolled: 1-line block ×20, first 2 shown]
	s_waitcnt lgkmcnt(0)
	; wave barrier
	s_waitcnt vmcnt(11) lgkmcnt(0)
	v_mul_f64 v[82:83], v[154:155], v[38:39]
	v_mul_f64 v[156:157], v[74:75], v[38:39]
	s_waitcnt vmcnt(9)
	v_mul_f64 v[164:165], v[70:71], v[46:47]
	v_mul_f64 v[162:163], v[76:77], v[46:47]
	;; [unrolled: 1-line block ×3, first 2 shown]
	s_waitcnt vmcnt(6)
	v_mul_f64 v[174:175], v[118:119], v[58:59]
	v_mul_f64 v[176:177], v[6:7], v[58:59]
	;; [unrolled: 1-line block ×4, first 2 shown]
	v_fmac_f64_e32 v[164:165], v[76:77], v[44:45]
	v_fma_f64 v[76:77], v[6:7], v[56:57], -v[174:175]
	s_waitcnt vmcnt(5)
	v_mul_f64 v[6:7], v[138:139], v[64:65]
	v_mul_f64 v[158:159], v[66:67], v[42:43]
	;; [unrolled: 1-line block ×13, first 2 shown]
	v_fma_f64 v[74:75], v[74:75], v[36:37], -v[82:83]
	v_fmac_f64_e32 v[156:157], v[154:155], v[36:37]
	v_fma_f64 v[82:83], v[2:3], v[36:37], -v[184:185]
	v_fmac_f64_e32 v[38:39], v[106:107], v[36:37]
	v_fma_f64 v[36:37], v[16:17], v[48:49], -v[190:191]
	v_mul_f64 v[2:3], v[24:25], v[64:65]
	v_fma_f64 v[16:17], v[24:25], v[62:63], -v[6:7]
	s_waitcnt vmcnt(1)
	v_mul_f64 v[24:25], v[116:117], v[98:99]
	v_mul_f64 v[192:193], v[114:115], v[54:55]
	;; [unrolled: 1-line block ×4, first 2 shown]
	v_fma_f64 v[72:73], v[72:73], v[40:41], -v[158:159]
	v_fmac_f64_e32 v[160:161], v[66:67], v[40:41]
	v_fma_f64 v[66:67], v[70:71], v[44:45], -v[162:163]
	v_fma_f64 v[70:71], v[14:15], v[48:49], -v[166:167]
	;; [unrolled: 1-line block ×3, first 2 shown]
	v_fmac_f64_e32 v[172:173], v[112:113], v[52:53]
	v_fmac_f64_e32 v[176:177], v[118:119], v[56:57]
	v_fma_f64 v[26:27], v[26:27], v[40:41], -v[186:187]
	v_fmac_f64_e32 v[42:43], v[140:141], v[40:41]
	v_fma_f64 v[22:23], v[22:23], v[44:45], -v[188:189]
	;; [unrolled: 2-line block ×3, first 2 shown]
	v_mul_f64 v[8:9], v[142:143], v[86:87]
	v_mul_f64 v[14:15], v[108:109], v[90:91]
	v_fma_f64 v[44:45], v[4:5], v[96:97], -v[24:25]
	s_waitcnt vmcnt(0)
	v_mul_f64 v[24:25], v[152:153], v[102:103]
	v_fmac_f64_e32 v[168:169], v[110:111], v[48:49]
	v_fmac_f64_e32 v[50:51], v[146:147], v[48:49]
	v_fma_f64 v[30:31], v[30:31], v[52:53], -v[192:193]
	v_fmac_f64_e32 v[54:55], v[114:115], v[52:53]
	v_fmac_f64_e32 v[58:59], v[150:151], v[56:57]
	v_fma_f64 v[6:7], v[20:21], v[84:85], -v[8:9]
	v_mul_f64 v[8:9], v[20:21], v[86:87]
	v_fma_f64 v[14:15], v[12:13], v[88:89], -v[14:15]
	v_mul_f64 v[12:13], v[12:13], v[90:91]
	v_mul_f64 v[20:21], v[148:149], v[94:95]
	v_fma_f64 v[48:49], v[10:11], v[100:101], -v[24:25]
	v_add_f64 v[24:25], v[74:75], v[76:77]
	v_add_f64 v[52:53], v[156:157], v[176:177]
	v_add_f64 v[56:57], v[74:75], -v[76:77]
	v_add_f64 v[64:65], v[72:73], v[28:29]
	v_add_f64 v[74:75], v[160:161], v[172:173]
	v_fmac_f64_e32 v[2:3], v[138:139], v[62:63]
	v_fmac_f64_e32 v[8:9], v[142:143], v[84:85]
	;; [unrolled: 1-line block ×3, first 2 shown]
	v_fma_f64 v[20:21], v[18:19], v[92:93], -v[20:21]
	v_mul_f64 v[18:19], v[18:19], v[94:95]
	v_mul_f64 v[4:5], v[4:5], v[98:99]
	;; [unrolled: 1-line block ×3, first 2 shown]
	v_add_f64 v[62:63], v[156:157], -v[176:177]
	v_add_f64 v[28:29], v[72:73], -v[28:29]
	;; [unrolled: 1-line block ×3, first 2 shown]
	v_add_f64 v[76:77], v[66:67], v[70:71]
	v_add_f64 v[84:85], v[164:165], v[168:169]
	v_add_f64 v[66:67], v[70:71], -v[66:67]
	v_add_f64 v[70:71], v[168:169], -v[164:165]
	v_add_f64 v[86:87], v[64:65], v[24:25]
	v_add_f64 v[88:89], v[74:75], v[52:53]
	v_fmac_f64_e32 v[18:19], v[148:149], v[92:93]
	v_fmac_f64_e32 v[4:5], v[116:117], v[96:97]
	;; [unrolled: 1-line block ×3, first 2 shown]
	v_add_f64 v[90:91], v[64:65], -v[24:25]
	v_add_f64 v[92:93], v[74:75], -v[52:53]
	;; [unrolled: 1-line block ×6, first 2 shown]
	v_add_f64 v[24:25], v[66:67], v[28:29]
	v_add_f64 v[96:97], v[70:71], v[72:73]
	v_add_f64 v[98:99], v[66:67], -v[28:29]
	v_add_f64 v[100:101], v[70:71], -v[72:73]
	;; [unrolled: 1-line block ×4, first 2 shown]
	v_add_f64 v[76:77], v[76:77], v[86:87]
	v_add_f64 v[84:85], v[84:85], v[88:89]
	v_add_f64 v[66:67], v[56:57], -v[66:67]
	v_add_f64 v[70:71], v[62:63], -v[70:71]
	v_add_f64 v[56:57], v[24:25], v[56:57]
	v_add_f64 v[62:63], v[96:97], v[62:63]
	;; [unrolled: 1-line block ×4, first 2 shown]
	v_mul_f64 v[86:87], v[94:95], s[2:3]
	v_mul_f64 v[52:53], v[52:53], s[2:3]
	;; [unrolled: 1-line block ×8, first 2 shown]
	v_fma_f64 v[76:77], s[14:15], v[76:77], v[0:1]
	v_fma_f64 v[84:85], s[14:15], v[84:85], v[24:25]
	v_fma_f64 v[88:89], v[90:91], s[18:19], -v[88:89]
	v_fma_f64 v[90:91], v[90:91], s[20:21], -v[86:87]
	v_fmac_f64_e32 v[86:87], s[0:1], v[64:65]
	v_fma_f64 v[64:65], v[92:93], s[20:21], -v[52:53]
	v_fmac_f64_e32 v[52:53], s[0:1], v[74:75]
	;; [unrolled: 2-line block ×4, first 2 shown]
	v_fma_f64 v[66:67], v[66:67], s[26:27], -v[100:101]
	v_fma_f64 v[70:71], v[70:71], s[26:27], -v[102:103]
	;; [unrolled: 1-line block ×3, first 2 shown]
	v_add_f64 v[74:75], v[86:87], v[76:77]
	v_add_f64 v[52:53], v[52:53], v[84:85]
	;; [unrolled: 1-line block ×5, first 2 shown]
	v_fmac_f64_e32 v[96:97], s[24:25], v[56:57]
	v_fmac_f64_e32 v[98:99], s[24:25], v[62:63]
	;; [unrolled: 1-line block ×4, first 2 shown]
	v_add_f64 v[88:89], v[94:95], v[84:85]
	v_fmac_f64_e32 v[28:29], s[24:25], v[56:57]
	v_fmac_f64_e32 v[72:73], s[24:25], v[62:63]
	v_add_f64 v[56:57], v[98:99], v[74:75]
	v_add_f64 v[84:85], v[52:53], -v[96:97]
	v_add_f64 v[62:63], v[70:71], v[76:77]
	v_add_f64 v[90:91], v[64:65], -v[66:67]
	v_add_f64 v[70:71], v[76:77], -v[70:71]
	v_add_f64 v[66:67], v[66:67], v[64:65]
	v_add_f64 v[64:65], v[74:75], -v[98:99]
	v_add_f64 v[74:75], v[96:97], v[52:53]
	v_add_f64 v[52:53], v[82:83], v[40:41]
	;; [unrolled: 1-line block ×3, first 2 shown]
	v_add_f64 v[40:41], v[82:83], -v[40:41]
	v_add_f64 v[38:39], v[38:39], -v[58:59]
	v_add_f64 v[58:59], v[26:27], v[30:31]
	v_add_f64 v[82:83], v[42:43], v[54:55]
	v_add_f64 v[26:27], v[26:27], -v[30:31]
	v_add_f64 v[30:31], v[42:43], -v[54:55]
	v_add_f64 v[42:43], v[22:23], v[36:37]
	v_add_f64 v[54:55], v[46:47], v[50:51]
	;; [unrolled: 4-line block ×3, first 2 shown]
	v_add_f64 v[92:93], v[86:87], -v[72:73]
	v_add_f64 v[94:95], v[28:29], v[88:89]
	v_add_f64 v[72:73], v[72:73], v[86:87]
	v_add_f64 v[28:29], v[88:89], -v[28:29]
	v_add_f64 v[86:87], v[58:59], -v[52:53]
	;; [unrolled: 1-line block ×7, first 2 shown]
	v_add_f64 v[96:97], v[22:23], v[26:27]
	v_add_f64 v[98:99], v[36:37], v[30:31]
	v_add_f64 v[100:101], v[22:23], -v[26:27]
	v_add_f64 v[102:103], v[36:37], -v[30:31]
	;; [unrolled: 1-line block ×4, first 2 shown]
	v_add_f64 v[42:43], v[42:43], v[46:47]
	v_add_f64 v[46:47], v[54:55], v[50:51]
	v_add_f64 v[22:23], v[40:41], -v[22:23]
	v_add_f64 v[36:37], v[38:39], -v[36:37]
	v_add_f64 v[40:41], v[96:97], v[40:41]
	v_add_f64 v[38:39], v[98:99], v[38:39]
	;; [unrolled: 1-line block ×4, first 2 shown]
	v_mul_f64 v[52:53], v[52:53], s[2:3]
	v_mul_f64 v[54:55], v[76:77], s[2:3]
	;; [unrolled: 1-line block ×8, first 2 shown]
	v_fma_f64 v[42:43], s[14:15], v[42:43], v[50:51]
	v_fma_f64 v[46:47], s[14:15], v[46:47], v[34:35]
	v_fma_f64 v[68:69], v[86:87], s[18:19], -v[68:69]
	v_fma_f64 v[76:77], v[88:89], s[18:19], -v[76:77]
	v_fma_f64 v[86:87], v[86:87], s[20:21], -v[52:53]
	v_fmac_f64_e32 v[52:53], s[0:1], v[58:59]
	v_fma_f64 v[58:59], v[88:89], s[20:21], -v[54:55]
	v_fmac_f64_e32 v[54:55], s[0:1], v[82:83]
	v_fma_f64 v[26:27], v[26:27], s[4:5], -v[96:97]
	;; [unrolled: 2-line block ×4, first 2 shown]
	v_fma_f64 v[36:37], v[36:37], s[26:27], -v[102:103]
	v_add_f64 v[52:53], v[52:53], v[42:43]
	v_add_f64 v[54:55], v[54:55], v[46:47]
	;; [unrolled: 1-line block ×6, first 2 shown]
	v_fmac_f64_e32 v[98:99], s[24:25], v[38:39]
	v_fmac_f64_e32 v[22:23], s[24:25], v[40:41]
	;; [unrolled: 1-line block ×6, first 2 shown]
	v_add_f64 v[38:39], v[98:99], v[52:53]
	v_add_f64 v[40:41], v[36:37], v[42:43]
	v_add_f64 v[86:87], v[46:47], -v[22:23]
	v_add_f64 v[36:37], v[42:43], -v[36:37]
	v_add_f64 v[46:47], v[22:23], v[46:47]
	v_add_f64 v[22:23], v[52:53], -v[98:99]
	v_add_f64 v[42:43], v[16:17], v[48:49]
	v_add_f64 v[52:53], v[2:3], v[10:11]
	v_add_f64 v[16:17], v[16:17], -v[48:49]
	v_add_f64 v[2:3], v[2:3], -v[10:11]
	v_add_f64 v[10:11], v[6:7], v[44:45]
	v_add_f64 v[48:49], v[8:9], v[4:5]
	v_add_f64 v[6:7], v[6:7], -v[44:45]
	v_add_f64 v[4:5], v[8:9], -v[4:5]
	v_add_f64 v[8:9], v[14:15], v[20:21]
	v_add_f64 v[44:45], v[12:13], v[18:19]
	v_add_f64 v[14:15], v[20:21], -v[14:15]
	v_add_f64 v[12:13], v[18:19], -v[12:13]
	v_add_f64 v[18:19], v[10:11], v[42:43]
	v_add_f64 v[20:21], v[48:49], v[52:53]
	v_add_f64 v[82:83], v[54:55], -v[96:97]
	v_add_f64 v[58:59], v[68:69], -v[30:31]
	v_add_f64 v[88:89], v[26:27], v[76:77]
	v_add_f64 v[30:31], v[30:31], v[68:69]
	v_add_f64 v[26:27], v[76:77], -v[26:27]
	v_add_f64 v[68:69], v[96:97], v[54:55]
	v_add_f64 v[54:55], v[10:11], -v[42:43]
	v_add_f64 v[76:77], v[48:49], -v[52:53]
	v_add_f64 v[42:43], v[42:43], -v[8:9]
	v_add_f64 v[52:53], v[52:53], -v[44:45]
	v_add_f64 v[10:11], v[8:9], -v[10:11]
	v_add_f64 v[96:97], v[14:15], v[6:7]
	v_add_f64 v[100:101], v[14:15], -v[6:7]
	v_add_f64 v[8:9], v[8:9], v[18:19]
	v_add_f64 v[18:19], v[44:45], v[20:21]
	v_add_f64 v[48:49], v[44:45], -v[48:49]
	v_add_f64 v[14:15], v[16:17], -v[14:15]
	;; [unrolled: 1-line block ×3, first 2 shown]
	v_add_f64 v[16:17], v[96:97], v[16:17]
	v_add_f64 v[32:33], v[32:33], v[18:19]
	v_mul_f64 v[42:43], v[42:43], s[2:3]
	v_mul_f64 v[44:45], v[52:53], s[2:3]
	;; [unrolled: 1-line block ×4, first 2 shown]
	v_add_f64 v[98:99], v[12:13], v[4:5]
	v_add_f64 v[102:103], v[12:13], -v[4:5]
	v_add_f64 v[4:5], v[4:5], -v[2:3]
	v_add_f64 v[20:21], v[60:61], v[8:9]
	v_mul_f64 v[60:61], v[48:49], s[0:1]
	v_fma_f64 v[18:19], s[14:15], v[18:19], v[32:33]
	v_fma_f64 v[10:11], s[0:1], v[10:11], v[42:43]
	v_fma_f64 v[52:53], v[54:55], s[18:19], -v[52:53]
	v_fma_f64 v[42:43], v[54:55], s[20:21], -v[42:43]
	;; [unrolled: 1-line block ×3, first 2 shown]
	v_fmac_f64_e32 v[44:45], s[0:1], v[48:49]
	v_fma_f64 v[48:49], s[22:23], v[14:15], v[96:97]
	v_add_f64 v[12:13], v[2:3], -v[12:13]
	v_add_f64 v[2:3], v[98:99], v[2:3]
	v_mul_f64 v[98:99], v[102:103], s[12:13]
	v_mul_f64 v[102:103], v[4:5], s[4:5]
	v_add_f64 v[44:45], v[44:45], v[18:19]
	v_fmac_f64_e32 v[48:49], s[24:25], v[16:17]
	v_mul_f64 v[100:101], v[6:7], s[4:5]
	v_fma_f64 v[8:9], s[14:15], v[8:9], v[20:21]
	v_fma_f64 v[60:61], v[76:77], s[18:19], -v[60:61]
	v_fma_f64 v[6:7], v[6:7], s[4:5], -v[96:97]
	;; [unrolled: 1-line block ×3, first 2 shown]
	v_fmac_f64_e32 v[98:99], s[22:23], v[12:13]
	v_fma_f64 v[12:13], v[12:13], s[26:27], -v[102:103]
	v_add_f64 v[76:77], v[44:45], -v[48:49]
	v_add_f64 v[44:45], v[48:49], v[44:45]
	v_add_u32_e32 v48, 0x400, v179
	v_fma_f64 v[14:15], v[14:15], s[26:27], -v[100:101]
	v_add_f64 v[10:11], v[10:11], v[8:9]
	v_add_f64 v[52:53], v[52:53], v[8:9]
	;; [unrolled: 1-line block ×4, first 2 shown]
	v_fmac_f64_e32 v[98:99], s[24:25], v[2:3]
	v_fmac_f64_e32 v[6:7], s[24:25], v[16:17]
	;; [unrolled: 1-line block ×4, first 2 shown]
	ds_write2_b64 v179, v[0:1], v[56:57] offset1:52
	ds_write2_b64 v179, v[62:63], v[92:93] offset0:104 offset1:156
	ds_write2_b64 v48, v[72:73], v[70:71] offset0:80 offset1:132
	;; [unrolled: 1-line block ×6, first 2 shown]
	v_lshl_add_u32 v30, v131, 3, 0
	v_add_f64 v[18:19], v[54:55], v[18:19]
	v_fmac_f64_e32 v[14:15], s[24:25], v[16:17]
	v_add_f64 v[2:3], v[98:99], v[10:11]
	v_add_f64 v[16:17], v[12:13], v[8:9]
	v_add_f64 v[42:43], v[52:53], -v[4:5]
	v_add_f64 v[100:101], v[6:7], v[60:61]
	v_add_f64 v[4:5], v[4:5], v[52:53]
	v_add_f64 v[102:103], v[60:61], -v[6:7]
	v_add_f64 v[6:7], v[8:9], -v[12:13]
	;; [unrolled: 1-line block ×3, first 2 shown]
	v_add_u32_e32 v31, 0x1400, v30
	v_add_u32_e32 v36, 0x1800, v30
	;; [unrolled: 1-line block ×3, first 2 shown]
	v_add_f64 v[96:97], v[18:19], -v[14:15]
	v_add_f64 v[104:105], v[14:15], v[18:19]
	ds_write2_b64 v31, v[20:21], v[2:3] offset0:88 offset1:140
	ds_write2_b64 v36, v[16:17], v[42:43] offset0:64 offset1:116
	;; [unrolled: 1-line block ×3, first 2 shown]
	ds_write_b64 v30, v[8:9] offset:8320
	s_waitcnt lgkmcnt(0)
	; wave barrier
	s_waitcnt lgkmcnt(0)
	ds_read_b64 v[56:57], v179
	ds_read_b64 v[58:59], v180
	ds_read2_b64 v[0:3], v70 offset0:88 offset1:140
	ds_read2_b64 v[4:7], v79 offset0:160 offset1:212
	ds_read_b64 v[62:63], v133
	ds_read2_b64 v[8:11], v80 offset0:64 offset1:116
	ds_read2_b64 v[12:15], v78 offset0:8 offset1:60
	;; [unrolled: 1-line block ×4, first 2 shown]
	ds_read_b64 v[64:65], v181
	ds_read_b64 v[52:53], v127
	;; [unrolled: 1-line block ×5, first 2 shown]
	ds_read_b64 v[54:55], v179 offset:8320
	s_waitcnt lgkmcnt(0)
	; wave barrier
	s_waitcnt lgkmcnt(0)
	ds_write2_b64 v179, v[24:25], v[84:85] offset1:52
	ds_write2_b64 v179, v[90:91], v[94:95] offset0:104 offset1:156
	ds_write2_b64 v48, v[28:29], v[66:67] offset0:80 offset1:132
	;; [unrolled: 1-line block ×9, first 2 shown]
	ds_write_b64 v30, v[44:45] offset:8320
	s_waitcnt lgkmcnt(0)
	; wave barrier
	s_waitcnt lgkmcnt(0)
	s_and_saveexec_b64 s[0:1], vcc
	s_cbranch_execz .LBB0_37
; %bb.36:
	v_mov_b32_e32 v131, 0
	v_lshl_add_u64 v[24:25], v[130:131], 4, s[8:9]
	s_mov_b64 s[0:1], 0x16a0
	v_add_co_u32_e32 v34, vcc, 0x1000, v24
	v_lshl_add_u64 v[32:33], v[24:25], 0, s[0:1]
	s_nop 0
	v_addc_co_u32_e32 v35, vcc, 0, v25, vcc
	v_mov_b32_e32 v137, v131
	s_movk_i32 s12, 0x1000
	global_load_dwordx4 v[24:27], v[34:35], off offset:1696
	global_load_dwordx4 v[28:31], v[32:33], off offset:16
	v_lshl_add_u64 v[32:33], v[136:137], 4, s[8:9]
	v_add_co_u32_e32 v46, vcc, s12, v32
	v_lshl_add_u64 v[44:45], v[32:33], 0, s[0:1]
	s_nop 0
	v_addc_co_u32_e32 v47, vcc, 0, v33, vcc
	global_load_dwordx4 v[36:39], v[46:47], off offset:1696
	global_load_dwordx4 v[32:35], v[44:45], off offset:16
	v_mov_b32_e32 v135, v131
	v_lshl_add_u64 v[44:45], v[134:135], 4, s[8:9]
	v_add_co_u32_e32 v72, vcc, s12, v44
	v_lshl_add_u64 v[68:69], v[44:45], 0, s[0:1]
	s_nop 0
	v_addc_co_u32_e32 v73, vcc, 0, v45, vcc
	global_load_dwordx4 v[44:47], v[72:73], off offset:1696
	global_load_dwordx4 v[48:51], v[68:69], off offset:16
	v_mul_lo_u32 v71, s11, v122
	v_mul_lo_u32 v74, s10, v123
	v_mad_u64_u32 v[66:67], s[2:3], s10, v122, 0
	v_add_u32_e32 v100, 0x1000, v179
	ds_read_b64 v[68:69], v133
	ds_read_b64 v[112:113], v125
	ds_read_b64 v[88:89], v179 offset:8320
	ds_read_b64 v[114:115], v179
	v_mov_b32_e32 v133, v131
	v_add_u32_e32 v108, 0x1800, v179
	v_add3_u32 v67, v67, v74, v71
	ds_read2_b64 v[72:75], v100 offset0:112 offset1:164
	v_lshl_add_u64 v[80:81], v[132:133], 4, s[8:9]
	ds_read2_b64 v[76:79], v108 offset0:168 offset1:220
	v_add_co_u32_e32 v92, vcc, s12, v80
	v_lshl_add_u64 v[90:91], v[80:81], 0, s[0:1]
	s_nop 0
	v_addc_co_u32_e32 v93, vcc, 0, v81, vcc
	global_load_dwordx4 v[80:83], v[92:93], off offset:1696
	global_load_dwordx4 v[84:87], v[90:91], off offset:16
	s_mov_b32 s2, 0xe8584caa
	s_mov_b32 s3, 0x3febb67a
	;; [unrolled: 1-line block ×4, first 2 shown]
	v_mov_b32_e32 v125, v131
	ds_read2_b64 v[108:111], v108 offset0:64 offset1:116
	ds_read_b64 v[116:117], v181
	ds_read_b64 v[104:105], v127
	v_mov_b32_e32 v127, v131
	s_waitcnt vmcnt(7) lgkmcnt(4)
	v_mul_f64 v[90:91], v[26:27], v[74:75]
	v_mul_f64 v[74:75], v[24:25], v[74:75]
	v_fma_f64 v[24:25], v[22:23], v[24:25], -v[90:91]
	v_fmac_f64_e32 v[74:75], v[22:23], v[26:27]
	ds_read_b64 v[22:23], v182
	s_waitcnt vmcnt(6)
	v_mul_f64 v[92:93], v[30:31], v[88:89]
	v_mul_f64 v[88:89], v[28:29], v[88:89]
	s_waitcnt vmcnt(5)
	v_mul_f64 v[94:95], v[38:39], v[72:73]
	s_waitcnt vmcnt(4) lgkmcnt(4)
	v_mul_f64 v[96:97], v[34:35], v[78:79]
	v_mul_f64 v[78:79], v[32:33], v[78:79]
	v_fma_f64 v[96:97], v[18:19], v[32:33], -v[96:97]
	ds_read_b64 v[32:33], v129
	v_mul_f64 v[98:99], v[36:37], v[72:73]
	v_fma_f64 v[28:29], v[54:55], v[28:29], -v[92:93]
	v_fmac_f64_e32 v[88:89], v[54:55], v[30:31]
	v_fma_f64 v[54:55], v[20:21], v[36:37], -v[94:95]
	v_fmac_f64_e32 v[98:99], v[20:21], v[38:39]
	v_add_f64 v[26:27], v[74:75], v[88:89]
	v_add_f64 v[36:37], v[24:25], v[28:29]
	v_fmac_f64_e32 v[78:79], v[18:19], v[34:35]
	v_add_f64 v[20:21], v[24:25], -v[28:29]
	v_add_f64 v[38:39], v[74:75], -v[88:89]
	v_add_f64 v[72:73], v[42:43], v[24:25]
	s_waitcnt lgkmcnt(1)
	v_fma_f64 v[26:27], -0.5, v[26:27], v[22:23]
	v_fma_f64 v[24:25], -0.5, v[36:37], v[42:43]
	v_add_f64 v[18:19], v[98:99], v[78:79]
	v_mov_b32_e32 v129, v131
	v_add_f64 v[30:31], v[74:75], v[22:23]
	v_fma_f64 v[22:23], s[2:3], v[20:21], v[26:27]
	v_fmac_f64_e32 v[26:27], s[4:5], v[20:21]
	v_fma_f64 v[20:21], s[4:5], v[38:39], v[24:25]
	v_fmac_f64_e32 v[24:25], s[2:3], v[38:39]
	s_waitcnt lgkmcnt(0)
	v_fma_f64 v[38:39], -0.5, v[18:19], v[32:33]
	v_lshl_add_u64 v[18:19], v[128:129], 4, s[8:9]
	v_add_co_u32_e32 v36, vcc, s12, v18
	v_add_f64 v[28:29], v[72:73], v[28:29]
	s_nop 0
	v_addc_co_u32_e32 v37, vcc, 0, v19, vcc
	global_load_dwordx4 v[72:75], v[36:37], off offset:1696
	v_lshl_add_u64 v[18:19], v[18:19], 0, s[0:1]
	v_add_f64 v[30:31], v[88:89], v[30:31]
	global_load_dwordx4 v[88:91], v[18:19], off offset:16
	v_add_f64 v[92:93], v[54:55], -v[96:97]
	v_add_f64 v[18:19], v[98:99], v[32:33]
	v_fma_f64 v[34:35], s[2:3], v[92:93], v[38:39]
	v_fmac_f64_e32 v[38:39], s[4:5], v[92:93]
	v_add_f64 v[42:43], v[78:79], v[18:19]
	v_add_f64 v[18:19], v[54:55], v[96:97]
	ds_read2_b64 v[92:95], v100 offset0:8 offset1:60
	v_fma_f64 v[36:37], -0.5, v[18:19], v[40:41]
	v_add_f64 v[18:19], v[98:99], -v[78:79]
	v_fma_f64 v[32:33], s[4:5], v[18:19], v[36:37]
	v_fmac_f64_e32 v[36:37], s[2:3], v[18:19]
	v_add_f64 v[18:19], v[40:41], v[54:55]
	v_lshl_add_u64 v[78:79], v[126:127], 4, s[8:9]
	v_add_f64 v[40:41], v[18:19], v[96:97]
	v_add_co_u32_e32 v96, vcc, s12, v78
	s_waitcnt vmcnt(5) lgkmcnt(0)
	v_mul_f64 v[18:19], v[46:47], v[94:95]
	v_addc_co_u32_e32 v97, vcc, 0, v79, vcc
	v_lshl_add_u64 v[78:79], v[78:79], 0, s[0:1]
	global_load_dwordx4 v[96:99], v[96:97], off offset:1696
	v_mul_f64 v[94:95], v[44:45], v[94:95]
	global_load_dwordx4 v[100:103], v[78:79], off offset:16
	v_fma_f64 v[18:19], v[14:15], v[44:45], -v[18:19]
	s_waitcnt vmcnt(6)
	v_mul_f64 v[54:55], v[50:51], v[76:77]
	v_fmac_f64_e32 v[94:95], v[14:15], v[46:47]
	v_mul_f64 v[14:15], v[48:49], v[76:77]
	v_fma_f64 v[54:55], v[16:17], v[48:49], -v[54:55]
	v_fmac_f64_e32 v[14:15], v[16:17], v[50:51]
	v_lshl_add_u64 v[48:49], v[124:125], 4, s[8:9]
	v_add_f64 v[16:17], v[94:95], v[14:15]
	v_add_co_u32_e32 v76, vcc, s12, v48
	v_add_f64 v[78:79], v[18:19], -v[54:55]
	v_fma_f64 v[46:47], -0.5, v[16:17], v[104:105]
	v_addc_co_u32_e32 v77, vcc, 0, v49, vcc
	v_fma_f64 v[16:17], s[2:3], v[78:79], v[46:47]
	v_fmac_f64_e32 v[46:47], s[4:5], v[78:79]
	global_load_dwordx4 v[76:79], v[76:77], off offset:1696
	v_lshl_add_u64 v[48:49], v[48:49], 0, s[0:1]
	v_add_f64 v[44:45], v[94:95], v[104:105]
	global_load_dwordx4 v[104:107], v[48:49], off offset:16
	v_add_f64 v[50:51], v[14:15], v[44:45]
	v_add_f64 v[44:45], v[18:19], v[54:55]
	v_fma_f64 v[44:45], -0.5, v[44:45], v[52:53]
	v_add_f64 v[48:49], v[94:95], -v[14:15]
	v_add_f64 v[18:19], v[52:53], v[18:19]
	v_fma_f64 v[14:15], s[4:5], v[48:49], v[44:45]
	v_fmac_f64_e32 v[44:45], s[2:3], v[48:49]
	v_add_f64 v[48:49], v[18:19], v[54:55]
	s_waitcnt vmcnt(7)
	v_mul_f64 v[18:19], v[82:83], v[92:93]
	s_waitcnt vmcnt(6)
	v_mul_f64 v[52:53], v[86:87], v[110:111]
	v_fma_f64 v[18:19], v[12:13], v[80:81], -v[18:19]
	v_fma_f64 v[94:95], v[10:11], v[84:85], -v[52:53]
	v_mul_f64 v[80:81], v[80:81], v[92:93]
	v_mul_f64 v[84:85], v[84:85], v[110:111]
	v_fmac_f64_e32 v[80:81], v[12:13], v[82:83]
	v_fmac_f64_e32 v[84:85], v[10:11], v[86:87]
	v_add_f64 v[10:11], v[80:81], v[84:85]
	v_fma_f64 v[54:55], -0.5, v[10:11], v[116:117]
	v_add_f64 v[10:11], v[80:81], v[116:117]
	v_add_f64 v[52:53], v[18:19], -v[94:95]
	v_add_f64 v[82:83], v[84:85], v[10:11]
	v_add_f64 v[10:11], v[18:19], v[94:95]
	v_fma_f64 v[12:13], s[2:3], v[52:53], v[54:55]
	v_fmac_f64_e32 v[54:55], s[4:5], v[52:53]
	v_fma_f64 v[52:53], -0.5, v[10:11], v[64:65]
	v_add_u32_e32 v10, 0x800, v179
	v_add_f64 v[80:81], v[80:81], -v[84:85]
	ds_read2_b64 v[84:87], v10 offset0:160 offset1:212
	v_add_f64 v[18:19], v[64:65], v[18:19]
	v_fma_f64 v[10:11], s[4:5], v[80:81], v[52:53]
	v_fmac_f64_e32 v[52:53], s[2:3], v[80:81]
	v_add_f64 v[80:81], v[18:19], v[94:95]
	s_mov_b32 s0, 0x5a05a05b
	s_waitcnt vmcnt(5) lgkmcnt(0)
	v_mul_f64 v[18:19], v[74:75], v[86:87]
	v_fma_f64 v[18:19], v[6:7], v[72:73], -v[18:19]
	v_mul_f64 v[72:73], v[72:73], v[86:87]
	s_waitcnt vmcnt(4)
	v_mul_f64 v[86:87], v[88:89], v[108:109]
	v_mul_f64 v[64:65], v[90:91], v[108:109]
	v_fmac_f64_e32 v[72:73], v[6:7], v[74:75]
	v_fmac_f64_e32 v[86:87], v[8:9], v[90:91]
	v_fma_f64 v[92:93], v[8:9], v[88:89], -v[64:65]
	v_add_f64 v[6:7], v[72:73], v[86:87]
	v_add_f64 v[64:65], v[18:19], -v[92:93]
	v_fma_f64 v[8:9], -0.5, v[6:7], v[68:69]
	v_add_f64 v[6:7], v[72:73], v[68:69]
	v_fma_f64 v[74:75], s[2:3], v[64:65], v[8:9]
	v_fmac_f64_e32 v[8:9], s[4:5], v[64:65]
	v_add_f64 v[64:65], v[86:87], v[6:7]
	v_add_f64 v[6:7], v[18:19], v[92:93]
	v_fma_f64 v[6:7], -0.5, v[6:7], v[62:63]
	v_add_f64 v[68:69], v[72:73], -v[86:87]
	v_fma_f64 v[72:73], s[4:5], v[68:69], v[6:7]
	v_fmac_f64_e32 v[6:7], s[2:3], v[68:69]
	ds_read2_b64 v[68:71], v70 offset0:88 offset1:140
	v_add_f64 v[18:19], v[62:63], v[18:19]
	v_add_f64 v[62:63], v[18:19], v[92:93]
	ds_read_b64 v[92:93], v180
	s_waitcnt vmcnt(3)
	v_mul_f64 v[18:19], v[98:99], v[84:85]
	v_mul_f64 v[84:85], v[96:97], v[84:85]
	s_waitcnt vmcnt(2) lgkmcnt(1)
	v_mul_f64 v[86:87], v[102:103], v[70:71]
	v_mul_f64 v[70:71], v[100:101], v[70:71]
	v_fmac_f64_e32 v[84:85], v[4:5], v[98:99]
	v_fmac_f64_e32 v[70:71], v[2:3], v[102:103]
	v_fma_f64 v[18:19], v[4:5], v[96:97], -v[18:19]
	v_fma_f64 v[88:89], v[2:3], v[100:101], -v[86:87]
	v_add_f64 v[2:3], v[84:85], v[70:71]
	v_add_f64 v[90:91], v[18:19], -v[88:89]
	v_fma_f64 v[4:5], -0.5, v[2:3], v[112:113]
	v_add_f64 v[2:3], v[84:85], v[112:113]
	v_fma_f64 v[86:87], s[2:3], v[90:91], v[4:5]
	v_fmac_f64_e32 v[4:5], s[4:5], v[90:91]
	v_add_f64 v[90:91], v[70:71], v[2:3]
	v_add_f64 v[2:3], v[18:19], v[88:89]
	v_add_f64 v[18:19], v[60:61], v[18:19]
	v_add_f64 v[88:89], v[18:19], v[88:89]
	v_fma_f64 v[2:3], -0.5, v[2:3], v[60:61]
	s_waitcnt vmcnt(1) lgkmcnt(0)
	v_mul_f64 v[18:19], v[78:79], v[92:93]
	v_fma_f64 v[18:19], v[58:59], v[76:77], -v[18:19]
	v_mul_f64 v[76:77], v[76:77], v[92:93]
	s_waitcnt vmcnt(0)
	v_mul_f64 v[60:61], v[106:107], v[68:69]
	v_mul_f64 v[68:69], v[104:105], v[68:69]
	v_fmac_f64_e32 v[76:77], v[58:59], v[78:79]
	v_fmac_f64_e32 v[68:69], v[0:1], v[106:107]
	v_fma_f64 v[94:95], v[0:1], v[104:105], -v[60:61]
	v_add_f64 v[0:1], v[76:77], v[68:69]
	v_fma_f64 v[60:61], -0.5, v[0:1], v[114:115]
	v_add_f64 v[0:1], v[76:77], v[114:115]
	v_add_f64 v[78:79], v[68:69], v[0:1]
	;; [unrolled: 1-line block ×3, first 2 shown]
	v_fma_f64 v[58:59], -0.5, v[0:1], v[56:57]
	v_add_f64 v[0:1], v[76:77], -v[68:69]
	v_fma_f64 v[68:69], s[4:5], v[0:1], v[58:59]
	v_fmac_f64_e32 v[58:59], s[2:3], v[0:1]
	v_add_f64 v[0:1], v[56:57], v[18:19]
	v_add_f64 v[76:77], v[0:1], v[94:95]
	v_lshrrev_b32_e32 v0, 2, v178
	v_mul_hi_u32 v0, v0, s0
	v_lshrrev_b32_e32 v0, 5, v0
	v_mul_u32_u24_e32 v0, 0x16c, v0
	v_add_f64 v[70:71], v[84:85], -v[70:71]
	v_add_f64 v[96:97], v[18:19], -v[94:95]
	v_sub_u32_e32 v92, v178, v0
	v_fma_f64 v[84:85], s[4:5], v[70:71], v[2:3]
	v_fmac_f64_e32 v[2:3], s[2:3], v[70:71]
	v_fma_f64 v[70:71], s[2:3], v[96:97], v[60:61]
	v_mad_u64_u32 v[18:19], s[2:3], s16, v92, 0
	v_mov_b32_e32 v0, v19
	v_mad_u64_u32 v[0:1], s[2:3], s17, v92, v[0:1]
	v_mov_b32_e32 v19, v0
	v_lshl_add_u64 v[0:1], v[66:67], 4, s[6:7]
	v_lshl_add_u64 v[0:1], v[120:121], 4, v[0:1]
	;; [unrolled: 1-line block ×3, first 2 shown]
	v_add_u32_e32 v57, 0x16c, v92
	global_store_dwordx4 v[18:19], v[76:79], off
	v_mad_u64_u32 v[18:19], s[2:3], s16, v57, 0
	v_mov_b32_e32 v56, v19
	v_mad_u64_u32 v[56:57], s[2:3], s17, v57, v[56:57]
	v_mov_b32_e32 v19, v56
	v_fmac_f64_e32 v[60:61], s[4:5], v[96:97]
	v_lshl_add_u64 v[18:19], v[18:19], 4, v[0:1]
	v_add_u32_e32 v57, 0x2d8, v92
	global_store_dwordx4 v[18:19], v[58:61], off
	v_mad_u64_u32 v[18:19], s[2:3], s16, v57, 0
	v_mov_b32_e32 v56, v19
	v_mad_u64_u32 v[56:57], s[2:3], s17, v57, v[56:57]
	v_mov_b32_e32 v19, v56
	v_lshl_add_u64 v[18:19], v[18:19], 4, v[0:1]
	global_store_dwordx4 v[18:19], v[68:71], off
	v_add_u32_e32 v18, 52, v178
	v_lshrrev_b32_e32 v19, 2, v18
	v_mul_hi_u32 v19, v19, s0
	v_lshrrev_b32_e32 v19, 5, v19
	v_mul_u32_u24_e32 v56, 0x16c, v19
	v_sub_u32_e32 v18, v18, v56
	s_movk_i32 s1, 0x444
	v_mad_u32_u24 v58, v19, s1, v18
	v_mad_u64_u32 v[18:19], s[2:3], s16, v58, 0
	v_mov_b32_e32 v56, v19
	v_mad_u64_u32 v[56:57], s[2:3], s17, v58, v[56:57]
	v_mov_b32_e32 v19, v56
	v_lshl_add_u64 v[18:19], v[18:19], 4, v[0:1]
	v_add_u32_e32 v57, 0x16c, v58
	global_store_dwordx4 v[18:19], v[88:91], off
	v_mad_u64_u32 v[18:19], s[2:3], s16, v57, 0
	v_mov_b32_e32 v56, v19
	v_mad_u64_u32 v[56:57], s[2:3], s17, v57, v[56:57]
	v_mov_b32_e32 v19, v56
	v_lshl_add_u64 v[18:19], v[18:19], 4, v[0:1]
	global_store_dwordx4 v[18:19], v[2:5], off
	s_nop 1
	v_add_u32_e32 v5, 0x2d8, v58
	v_mad_u64_u32 v[2:3], s[2:3], s16, v5, 0
	v_mov_b32_e32 v4, v3
	v_mad_u64_u32 v[4:5], s[2:3], s17, v5, v[4:5]
	v_mov_b32_e32 v3, v4
	v_lshl_add_u64 v[2:3], v[2:3], 4, v[0:1]
	global_store_dwordx4 v[2:3], v[84:87], off
	v_add_u32_e32 v2, 0x68, v178
	v_lshrrev_b32_e32 v3, 2, v2
	v_mul_hi_u32 v3, v3, s0
	v_lshrrev_b32_e32 v3, 5, v3
	v_mul_u32_u24_e32 v4, 0x16c, v3
	v_sub_u32_e32 v2, v2, v4
	v_mad_u32_u24 v18, v3, s1, v2
	v_mad_u64_u32 v[2:3], s[2:3], s16, v18, 0
	v_mov_b32_e32 v4, v3
	v_mad_u64_u32 v[4:5], s[2:3], s17, v18, v[4:5]
	v_mov_b32_e32 v3, v4
	v_lshl_add_u64 v[2:3], v[2:3], 4, v[0:1]
	v_add_u32_e32 v5, 0x16c, v18
	global_store_dwordx4 v[2:3], v[62:65], off
	v_mad_u64_u32 v[2:3], s[2:3], s16, v5, 0
	v_mov_b32_e32 v4, v3
	v_mad_u64_u32 v[4:5], s[2:3], s17, v5, v[4:5]
	v_mov_b32_e32 v3, v4
	v_lshl_add_u64 v[2:3], v[2:3], 4, v[0:1]
	v_add_u32_e32 v5, 0x2d8, v18
	global_store_dwordx4 v[2:3], v[6:9], off
	v_mad_u64_u32 v[2:3], s[2:3], s16, v5, 0
	v_mov_b32_e32 v4, v3
	v_mad_u64_u32 v[4:5], s[2:3], s17, v5, v[4:5]
	v_mov_b32_e32 v3, v4
	v_lshl_add_u64 v[2:3], v[2:3], 4, v[0:1]
	global_store_dwordx4 v[2:3], v[72:75], off
	v_add_u32_e32 v2, 0x9c, v178
	v_lshrrev_b32_e32 v3, 2, v2
	v_mul_hi_u32 v3, v3, s0
	v_lshrrev_b32_e32 v3, 5, v3
	v_mul_u32_u24_e32 v4, 0x16c, v3
	v_sub_u32_e32 v2, v2, v4
	v_mad_u32_u24 v6, v3, s1, v2
	v_mad_u64_u32 v[2:3], s[2:3], s16, v6, 0
	v_mov_b32_e32 v4, v3
	v_mad_u64_u32 v[4:5], s[2:3], s17, v6, v[4:5]
	v_mov_b32_e32 v3, v4
	v_lshl_add_u64 v[2:3], v[2:3], 4, v[0:1]
	v_add_u32_e32 v5, 0x16c, v6
	global_store_dwordx4 v[2:3], v[80:83], off
	v_mad_u64_u32 v[2:3], s[2:3], s16, v5, 0
	v_mov_b32_e32 v4, v3
	v_mad_u64_u32 v[4:5], s[2:3], s17, v5, v[4:5]
	v_mov_b32_e32 v3, v4
	v_lshl_add_u64 v[2:3], v[2:3], 4, v[0:1]
	v_add_u32_e32 v5, 0x2d8, v6
	global_store_dwordx4 v[2:3], v[52:55], off
	;; [unrolled: 27-line block ×5, first 2 shown]
	v_mad_u64_u32 v[2:3], s[0:1], s16, v5, 0
	v_mov_b32_e32 v4, v3
	v_mad_u64_u32 v[4:5], s[0:1], s17, v5, v[4:5]
	v_mov_b32_e32 v3, v4
	v_lshl_add_u64 v[0:1], v[2:3], 4, v[0:1]
	global_store_dwordx4 v[0:1], v[20:23], off
.LBB0_37:
	s_endpgm
	.section	.rodata,"a",@progbits
	.p2align	6, 0x0
	.amdhsa_kernel fft_rtc_fwd_len1092_factors_2_2_13_7_3_wgs_52_tpt_52_halfLds_dp_op_CI_CI_sbrr_dirReg
		.amdhsa_group_segment_fixed_size 0
		.amdhsa_private_segment_fixed_size 0
		.amdhsa_kernarg_size 104
		.amdhsa_user_sgpr_count 2
		.amdhsa_user_sgpr_dispatch_ptr 0
		.amdhsa_user_sgpr_queue_ptr 0
		.amdhsa_user_sgpr_kernarg_segment_ptr 1
		.amdhsa_user_sgpr_dispatch_id 0
		.amdhsa_user_sgpr_kernarg_preload_length 0
		.amdhsa_user_sgpr_kernarg_preload_offset 0
		.amdhsa_user_sgpr_private_segment_size 0
		.amdhsa_uses_dynamic_stack 0
		.amdhsa_enable_private_segment 0
		.amdhsa_system_sgpr_workgroup_id_x 1
		.amdhsa_system_sgpr_workgroup_id_y 0
		.amdhsa_system_sgpr_workgroup_id_z 0
		.amdhsa_system_sgpr_workgroup_info 0
		.amdhsa_system_vgpr_workitem_id 0
		.amdhsa_next_free_vgpr 238
		.amdhsa_next_free_sgpr 50
		.amdhsa_accum_offset 240
		.amdhsa_reserve_vcc 1
		.amdhsa_float_round_mode_32 0
		.amdhsa_float_round_mode_16_64 0
		.amdhsa_float_denorm_mode_32 3
		.amdhsa_float_denorm_mode_16_64 3
		.amdhsa_dx10_clamp 1
		.amdhsa_ieee_mode 1
		.amdhsa_fp16_overflow 0
		.amdhsa_tg_split 0
		.amdhsa_exception_fp_ieee_invalid_op 0
		.amdhsa_exception_fp_denorm_src 0
		.amdhsa_exception_fp_ieee_div_zero 0
		.amdhsa_exception_fp_ieee_overflow 0
		.amdhsa_exception_fp_ieee_underflow 0
		.amdhsa_exception_fp_ieee_inexact 0
		.amdhsa_exception_int_div_zero 0
	.end_amdhsa_kernel
	.text
.Lfunc_end0:
	.size	fft_rtc_fwd_len1092_factors_2_2_13_7_3_wgs_52_tpt_52_halfLds_dp_op_CI_CI_sbrr_dirReg, .Lfunc_end0-fft_rtc_fwd_len1092_factors_2_2_13_7_3_wgs_52_tpt_52_halfLds_dp_op_CI_CI_sbrr_dirReg
                                        ; -- End function
	.section	.AMDGPU.csdata,"",@progbits
; Kernel info:
; codeLenInByte = 19500
; NumSgprs: 56
; NumVgprs: 238
; NumAgprs: 0
; TotalNumVgprs: 238
; ScratchSize: 0
; MemoryBound: 1
; FloatMode: 240
; IeeeMode: 1
; LDSByteSize: 0 bytes/workgroup (compile time only)
; SGPRBlocks: 6
; VGPRBlocks: 29
; NumSGPRsForWavesPerEU: 56
; NumVGPRsForWavesPerEU: 238
; AccumOffset: 240
; Occupancy: 2
; WaveLimiterHint : 1
; COMPUTE_PGM_RSRC2:SCRATCH_EN: 0
; COMPUTE_PGM_RSRC2:USER_SGPR: 2
; COMPUTE_PGM_RSRC2:TRAP_HANDLER: 0
; COMPUTE_PGM_RSRC2:TGID_X_EN: 1
; COMPUTE_PGM_RSRC2:TGID_Y_EN: 0
; COMPUTE_PGM_RSRC2:TGID_Z_EN: 0
; COMPUTE_PGM_RSRC2:TIDIG_COMP_CNT: 0
; COMPUTE_PGM_RSRC3_GFX90A:ACCUM_OFFSET: 59
; COMPUTE_PGM_RSRC3_GFX90A:TG_SPLIT: 0
	.text
	.p2alignl 6, 3212836864
	.fill 256, 4, 3212836864
	.type	__hip_cuid_615127bea39e9ed1,@object ; @__hip_cuid_615127bea39e9ed1
	.section	.bss,"aw",@nobits
	.globl	__hip_cuid_615127bea39e9ed1
__hip_cuid_615127bea39e9ed1:
	.byte	0                               ; 0x0
	.size	__hip_cuid_615127bea39e9ed1, 1

	.ident	"AMD clang version 19.0.0git (https://github.com/RadeonOpenCompute/llvm-project roc-6.4.0 25133 c7fe45cf4b819c5991fe208aaa96edf142730f1d)"
	.section	".note.GNU-stack","",@progbits
	.addrsig
	.addrsig_sym __hip_cuid_615127bea39e9ed1
	.amdgpu_metadata
---
amdhsa.kernels:
  - .agpr_count:     0
    .args:
      - .actual_access:  read_only
        .address_space:  global
        .offset:         0
        .size:           8
        .value_kind:     global_buffer
      - .offset:         8
        .size:           8
        .value_kind:     by_value
      - .actual_access:  read_only
        .address_space:  global
        .offset:         16
        .size:           8
        .value_kind:     global_buffer
      - .actual_access:  read_only
        .address_space:  global
        .offset:         24
        .size:           8
        .value_kind:     global_buffer
      - .actual_access:  read_only
        .address_space:  global
        .offset:         32
        .size:           8
        .value_kind:     global_buffer
      - .offset:         40
        .size:           8
        .value_kind:     by_value
      - .actual_access:  read_only
        .address_space:  global
        .offset:         48
        .size:           8
        .value_kind:     global_buffer
      - .actual_access:  read_only
        .address_space:  global
        .offset:         56
        .size:           8
        .value_kind:     global_buffer
      - .offset:         64
        .size:           4
        .value_kind:     by_value
      - .actual_access:  read_only
        .address_space:  global
        .offset:         72
        .size:           8
        .value_kind:     global_buffer
      - .actual_access:  read_only
        .address_space:  global
        .offset:         80
        .size:           8
        .value_kind:     global_buffer
      - .actual_access:  read_only
        .address_space:  global
        .offset:         88
        .size:           8
        .value_kind:     global_buffer
      - .actual_access:  write_only
        .address_space:  global
        .offset:         96
        .size:           8
        .value_kind:     global_buffer
    .group_segment_fixed_size: 0
    .kernarg_segment_align: 8
    .kernarg_segment_size: 104
    .language:       OpenCL C
    .language_version:
      - 2
      - 0
    .max_flat_workgroup_size: 52
    .name:           fft_rtc_fwd_len1092_factors_2_2_13_7_3_wgs_52_tpt_52_halfLds_dp_op_CI_CI_sbrr_dirReg
    .private_segment_fixed_size: 0
    .sgpr_count:     56
    .sgpr_spill_count: 0
    .symbol:         fft_rtc_fwd_len1092_factors_2_2_13_7_3_wgs_52_tpt_52_halfLds_dp_op_CI_CI_sbrr_dirReg.kd
    .uniform_work_group_size: 1
    .uses_dynamic_stack: false
    .vgpr_count:     238
    .vgpr_spill_count: 0
    .wavefront_size: 64
amdhsa.target:   amdgcn-amd-amdhsa--gfx950
amdhsa.version:
  - 1
  - 2
...

	.end_amdgpu_metadata
